;; amdgpu-corpus repo=ggml-org/llama.cpp kind=compiled arch=gfx1250 opt=O3
	.amdgcn_target "amdgcn-amd-amdhsa--gfx1250"
	.amdhsa_code_object_version 6
	.section	.text._ZL15concat_f32_contILi0EEvPKfS1_Pfllllll,"axG",@progbits,_ZL15concat_f32_contILi0EEvPKfS1_Pfllllll,comdat
	.globl	_ZL15concat_f32_contILi0EEvPKfS1_Pfllllll ; -- Begin function _ZL15concat_f32_contILi0EEvPKfS1_Pfllllll
	.p2align	8
	.type	_ZL15concat_f32_contILi0EEvPKfS1_Pfllllll,@function
_ZL15concat_f32_contILi0EEvPKfS1_Pfllllll: ; @_ZL15concat_f32_contILi0EEvPKfS1_Pfllllll
; %bb.0:
	s_clause 0x2
	s_load_b32 s2, s[0:1], 0x54
	s_load_b128 s[12:15], s[0:1], 0x30
	s_load_b64 s[4:5], s[0:1], 0x40
	s_bfe_u32 s3, ttmp6, 0x4000c
	s_and_b32 s6, ttmp6, 15
	s_add_co_i32 s3, s3, 1
	v_mov_b32_e32 v2, 0
	s_mul_i32 s3, ttmp9, s3
	s_delay_alu instid0(SALU_CYCLE_1) | instskip(SKIP_1) | instid1(VALU_DEP_1)
	s_add_co_i32 s6, s6, s3
	s_getreg_b32 s3, hwreg(HW_REG_IB_STS2, 6, 4)
	v_mov_b32_e32 v1, v2
	s_cmp_eq_u32 s3, 0
	s_mov_b32 s3, 0
	s_cselect_b32 s6, ttmp9, s6
	s_mov_b32 s7, s3
	s_wait_kmcnt 0x0
	s_and_b32 s2, s2, 0xffff
	s_delay_alu instid0(SALU_CYCLE_1) | instskip(SKIP_4) | instid1(VALU_DEP_1)
	s_mul_u64 s[18:19], s[2:3], s[6:7]
	s_mul_u64 s[6:7], s[14:15], s[12:13]
	v_add_nc_u64_e32 v[4:5], s[18:19], v[0:1]
	s_mul_u64 s[14:15], s[6:7], s[4:5]
	s_mov_b32 s4, exec_lo
	v_cmpx_gt_i64_e64 s[14:15], v[4:5]
	s_cbranch_execz .LBB0_11
; %bb.1:
	v_cvt_f32_u32_e32 v1, s12
	s_load_b256 s[4:11], s[0:1], 0x0
	s_wait_xcnt 0x0
	s_add_nc_u64 s[0:1], s[0:1], 0x48
	s_sub_nc_u64 s[22:23], 0, s[12:13]
	s_load_b32 s0, s[0:1], 0x0
	v_rcp_iflag_f32_e32 v1, v1
	s_wait_xcnt 0x0
	s_sub_co_i32 s1, 0, s12
	s_ashr_i32 s24, s13, 31
	v_nop
	s_delay_alu instid0(TRANS32_DEP_1) | instskip(NEXT) | instid1(VALU_DEP_1)
	v_dual_mul_f32 v1, 0x4f7ffffe, v1 :: v_dual_lshlrev_b32 v0, 2, v0
	v_cvt_u32_f32_e32 v3, v1
	s_wait_kmcnt 0x0
	s_lshl_b64 s[20:21], s[10:11], 2
	s_delay_alu instid0(VALU_DEP_1) | instskip(SKIP_1) | instid1(SALU_CYCLE_1)
	v_mul_lo_u32 v8, s1, v3
	s_mov_b32 s1, s3
	s_mul_u64 s[16:17], s[2:3], s[0:1]
	s_delay_alu instid0(VALU_DEP_1) | instskip(NEXT) | instid1(VALU_DEP_1)
	v_mul_hi_u32 v8, v3, v8
	v_dual_mov_b32 v1, v2 :: v_dual_add_nc_u32 v12, v3, v8
	s_delay_alu instid0(VALU_DEP_1) | instskip(SKIP_4) | instid1(VALU_DEP_2)
	v_sub_nc_u64_e64 v[6:7], v[0:1], s[20:21]
	v_add_nc_u64_e32 v[0:1], s[8:9], v[0:1]
	s_lshl_b64 s[8:9], s[18:19], 2
	s_lshl_b64 s[18:19], s[16:17], 2
	s_sub_nc_u64 s[20:21], 0, s[20:21]
	v_add_nc_u64_e32 v[6:7], s[6:7], v[6:7]
	s_mov_b64 s[6:7], 0xffffffff
	s_branch .LBB0_3
.LBB0_2:                                ;   in Loop: Header=BB0_3 Depth=1
	s_or_b32 exec_lo, exec_lo, s0
	global_load_b32 v3, v[10:11], off
	v_add_nc_u64_e32 v[4:5], s[16:17], v[4:5]
	v_add_nc_u64_e32 v[8:9], s[8:9], v[0:1]
	s_add_nc_u64 s[8:9], s[8:9], s[18:19]
	s_delay_alu instid0(VALU_DEP_2)
	v_cmp_le_i64_e32 vcc_lo, s[14:15], v[4:5]
	s_or_b32 s1, vcc_lo, s1
	s_wait_loadcnt 0x0
	global_store_b32 v[8:9], v3, off
	s_wait_xcnt 0x0
	s_and_not1_b32 exec_lo, exec_lo, s1
	s_cbranch_execz .LBB0_11
.LBB0_3:                                ; =>This Inner Loop Header: Depth=1
	v_or_b32_e32 v3, s13, v5
                                        ; implicit-def: $vgpr8_vgpr9
	s_mov_b32 s0, exec_lo
	s_delay_alu instid0(VALU_DEP_1)
	v_cmpx_ne_u64_e32 0, v[2:3]
	s_xor_b32 s28, exec_lo, s0
	s_cbranch_execz .LBB0_5
; %bb.4:                                ;   in Loop: Header=BB0_3 Depth=1
	s_mov_b32 s25, s24
	v_dual_mov_b32 v15, v2 :: v_dual_ashrrev_i32 v8, 31, v5
	s_add_nc_u64 s[26:27], s[12:13], s[24:25]
	v_mov_b32_e32 v23, v2
	s_xor_b64 s[26:27], s[26:27], s[24:25]
	s_delay_alu instid0(VALU_DEP_2) | instskip(SKIP_3) | instid1(VALU_DEP_1)
	v_mov_b32_e32 v9, v8
	s_cvt_f32_u32 s0, s26
	s_cvt_f32_u32 s2, s27
	s_sub_nc_u64 s[34:35], 0, s[26:27]
	v_add_nc_u64_e32 v[10:11], v[4:5], v[8:9]
	s_delay_alu instid0(SALU_CYCLE_1) | instskip(SKIP_1) | instid1(SALU_CYCLE_2)
	s_fmamk_f32 s0, s2, 0x4f800000, s0
	v_mov_b32_e32 v19, v2
	v_s_rcp_f32 s0, s0
	s_delay_alu instid0(VALU_DEP_2) | instskip(NEXT) | instid1(VALU_DEP_3)
	v_xor_b32_e32 v14, v10, v8
	v_xor_b32_e32 v18, v11, v8
	v_xor_b32_e32 v8, s24, v8
	s_delay_alu instid0(TRANS32_DEP_1) | instskip(NEXT) | instid1(SALU_CYCLE_3)
	s_mul_f32 s0, s0, 0x5f7ffffc
	s_mul_f32 s2, s0, 0x2f800000
	s_delay_alu instid0(SALU_CYCLE_3) | instskip(NEXT) | instid1(SALU_CYCLE_3)
	s_trunc_f32 s2, s2
	s_fmamk_f32 s0, s2, 0xcf800000, s0
	s_cvt_u32_f32 s31, s2
	s_delay_alu instid0(SALU_CYCLE_2) | instskip(NEXT) | instid1(SALU_CYCLE_3)
	s_cvt_u32_f32 s30, s0
	s_mul_u64 s[36:37], s[34:35], s[30:31]
	s_delay_alu instid0(SALU_CYCLE_1)
	s_mul_hi_u32 s39, s30, s37
	s_mul_i32 s38, s30, s37
	s_mul_hi_u32 s2, s30, s36
	s_mul_i32 s25, s31, s36
	s_add_nc_u64 s[38:39], s[2:3], s[38:39]
	s_mul_hi_u32 s0, s31, s36
	s_mul_hi_u32 s29, s31, s37
	s_add_co_u32 s2, s38, s25
	s_add_co_ci_u32 s2, s39, s0
	s_mul_i32 s36, s31, s37
	s_add_co_ci_u32 s37, s29, 0
	s_delay_alu instid0(SALU_CYCLE_1) | instskip(NEXT) | instid1(SALU_CYCLE_1)
	s_add_nc_u64 s[36:37], s[2:3], s[36:37]
	s_add_co_u32 s30, s30, s36
	s_cselect_b32 s0, -1, 0
	s_delay_alu instid0(SALU_CYCLE_1) | instskip(SKIP_1) | instid1(SALU_CYCLE_1)
	s_cmp_lg_u32 s0, 0
	s_add_co_ci_u32 s31, s31, s37
	s_mul_u64 s[34:35], s[34:35], s[30:31]
	s_delay_alu instid0(SALU_CYCLE_1)
	s_mul_hi_u32 s37, s30, s35
	s_mul_i32 s36, s30, s35
	s_mul_hi_u32 s2, s30, s34
	s_mul_i32 s25, s31, s34
	s_add_nc_u64 s[36:37], s[2:3], s[36:37]
	s_mul_hi_u32 s0, s31, s34
	s_mul_hi_u32 s29, s31, s35
	s_add_co_u32 s2, s36, s25
	s_add_co_ci_u32 s2, s37, s0
	s_mul_i32 s34, s31, s35
	s_add_co_ci_u32 s35, s29, 0
	s_delay_alu instid0(SALU_CYCLE_1) | instskip(NEXT) | instid1(SALU_CYCLE_1)
	s_add_nc_u64 s[34:35], s[2:3], s[34:35]
	s_add_co_u32 s0, s30, s34
	s_cselect_b32 s2, -1, 0
	v_mul_hi_u32 v22, v14, s0
	s_cmp_lg_u32 s2, 0
	s_add_co_ci_u32 s2, s31, s35
	s_and_b64 s[30:31], s[0:1], s[6:7]
	v_mul_u64_e32 v[16:17], s[2:3], v[14:15]
	v_mul_u64_e32 v[10:11], s[30:31], v[18:19]
	;; [unrolled: 1-line block ×3, first 2 shown]
	s_delay_alu instid0(VALU_DEP_3) | instskip(NEXT) | instid1(VALU_DEP_1)
	v_add_nc_u64_e32 v[16:17], v[22:23], v[16:17]
	v_add_co_u32 v3, vcc_lo, v16, v10
	s_delay_alu instid0(VALU_DEP_2) | instskip(NEXT) | instid1(VALU_DEP_4)
	v_add_co_ci_u32_e32 v22, vcc_lo, v17, v11, vcc_lo
	v_add_co_ci_u32_e32 v21, vcc_lo, 0, v21, vcc_lo
	s_delay_alu instid0(VALU_DEP_1) | instskip(NEXT) | instid1(VALU_DEP_1)
	v_add_nc_u64_e32 v[10:11], v[22:23], v[20:21]
	v_mul_u64_e32 v[16:17], s[26:27], v[10:11]
	s_delay_alu instid0(VALU_DEP_1) | instskip(NEXT) | instid1(VALU_DEP_2)
	v_sub_nc_u32_e32 v3, v18, v17
	v_sub_co_u32 v9, vcc_lo, v14, v16
	s_delay_alu instid0(VALU_DEP_1) | instskip(NEXT) | instid1(VALU_DEP_3)
	v_sub_co_ci_u32_e64 v18, null, v18, v17, vcc_lo
	v_subrev_co_ci_u32_e64 v3, null, s27, v3, vcc_lo
	s_delay_alu instid0(VALU_DEP_3) | instskip(SKIP_1) | instid1(VALU_DEP_3)
	v_sub_co_u32 v13, s0, v9, s26
	v_add_nc_u64_e32 v[16:17], 1, v[10:11]
	v_subrev_co_ci_u32_e64 v3, null, 0, v3, s0
	s_delay_alu instid0(VALU_DEP_3) | instskip(SKIP_1) | instid1(VALU_DEP_3)
	v_cmp_le_u32_e32 vcc_lo, s26, v13
	v_cndmask_b32_e64 v13, 0, -1, vcc_lo
	v_cmp_le_u32_e32 vcc_lo, s27, v3
	v_cndmask_b32_e64 v14, 0, -1, vcc_lo
	;; [unrolled: 2-line block ×4, first 2 shown]
	v_cmp_eq_u32_e32 vcc_lo, s27, v3
	v_cndmask_b32_e32 v3, v14, v13, vcc_lo
	v_cmp_eq_u32_e32 vcc_lo, s27, v18
	v_add_nc_u64_e32 v[14:15], 2, v[10:11]
	v_cndmask_b32_e32 v9, v19, v9, vcc_lo
	s_delay_alu instid0(VALU_DEP_4) | instskip(NEXT) | instid1(VALU_DEP_2)
	v_cmp_ne_u32_e32 vcc_lo, 0, v3
	v_cmp_ne_u32_e64 s0, 0, v9
	s_delay_alu instid0(VALU_DEP_4) | instskip(NEXT) | instid1(VALU_DEP_1)
	v_dual_cndmask_b32 v9, v16, v14, vcc_lo :: v_dual_cndmask_b32 v3, v17, v15, vcc_lo
	v_dual_cndmask_b32 v10, v10, v9, s0 :: v_dual_cndmask_b32 v3, v11, v3, s0
	s_delay_alu instid0(VALU_DEP_1) | instskip(NEXT) | instid1(VALU_DEP_2)
	v_dual_mov_b32 v9, v8 :: v_dual_bitop2_b32 v10, v10, v8 bitop3:0x14
	v_xor_b32_e32 v11, v3, v8
	s_delay_alu instid0(VALU_DEP_1)
	v_sub_nc_u64_e32 v[8:9], v[10:11], v[8:9]
.LBB0_5:                                ;   in Loop: Header=BB0_3 Depth=1
	s_and_not1_saveexec_b32 s0, s28
	s_cbranch_execz .LBB0_7
; %bb.6:                                ;   in Loop: Header=BB0_3 Depth=1
	v_mul_hi_u32 v3, v4, v12
	s_delay_alu instid0(VALU_DEP_1) | instskip(NEXT) | instid1(VALU_DEP_1)
	v_mul_lo_u32 v8, v3, s12
	v_dual_add_nc_u32 v9, 1, v3 :: v_dual_sub_nc_u32 v8, v4, v8
	s_delay_alu instid0(VALU_DEP_1) | instskip(SKIP_1) | instid1(VALU_DEP_2)
	v_subrev_nc_u32_e32 v10, s12, v8
	v_cmp_le_u32_e32 vcc_lo, s12, v8
	v_dual_cndmask_b32 v8, v8, v10 :: v_dual_cndmask_b32 v3, v3, v9
	s_delay_alu instid0(VALU_DEP_1) | instskip(NEXT) | instid1(VALU_DEP_2)
	v_cmp_le_u32_e32 vcc_lo, s12, v8
	v_add_nc_u32_e32 v9, 1, v3
	s_delay_alu instid0(VALU_DEP_1)
	v_dual_cndmask_b32 v8, v3, v9 :: v_dual_mov_b32 v9, v2
.LBB0_7:                                ;   in Loop: Header=BB0_3 Depth=1
	s_or_b32 exec_lo, exec_lo, s0
	s_delay_alu instid0(VALU_DEP_1) | instskip(NEXT) | instid1(VALU_DEP_1)
	v_mad_nc_u64_u32 v[10:11], s22, v8, v[4:5]
	v_mad_u32 v3, s23, v8, v11
	s_delay_alu instid0(VALU_DEP_1) | instskip(NEXT) | instid1(VALU_DEP_1)
	v_mad_u32 v11, s22, v9, v3
	v_cmp_le_i64_e32 vcc_lo, s[10:11], v[10:11]
                                        ; implicit-def: $vgpr10_vgpr11
	s_and_saveexec_b32 s0, vcc_lo
	s_delay_alu instid0(SALU_CYCLE_1)
	s_xor_b32 s0, exec_lo, s0
	s_cbranch_execz .LBB0_9
; %bb.8:                                ;   in Loop: Header=BB0_3 Depth=1
	v_mad_nc_u64_u32 v[10:11], s20, v8, s[8:9]
	s_delay_alu instid0(VALU_DEP_1) | instskip(NEXT) | instid1(VALU_DEP_1)
	v_mad_u32 v3, s21, v8, v11
	v_mad_u32 v11, s20, v9, v3
                                        ; implicit-def: $vgpr8_vgpr9
	s_delay_alu instid0(VALU_DEP_1)
	v_add_nc_u64_e32 v[10:11], v[6:7], v[10:11]
.LBB0_9:                                ;   in Loop: Header=BB0_3 Depth=1
	s_and_not1_saveexec_b32 s0, s0
	s_cbranch_execz .LBB0_2
; %bb.10:                               ;   in Loop: Header=BB0_3 Depth=1
	v_mul_u64_e32 v[10:11], s[12:13], v[8:9]
	v_mul_u64_e32 v[8:9], s[10:11], v[8:9]
	s_delay_alu instid0(VALU_DEP_2) | instskip(NEXT) | instid1(VALU_DEP_2)
	v_sub_nc_u64_e32 v[10:11], v[4:5], v[10:11]
	v_lshl_add_u64 v[8:9], v[8:9], 2, s[4:5]
	s_delay_alu instid0(VALU_DEP_1)
	v_lshl_add_u64 v[10:11], v[10:11], 2, v[8:9]
	s_branch .LBB0_2
.LBB0_11:
	s_endpgm
	.section	.rodata,"a",@progbits
	.p2align	6, 0x0
	.amdhsa_kernel _ZL15concat_f32_contILi0EEvPKfS1_Pfllllll
		.amdhsa_group_segment_fixed_size 0
		.amdhsa_private_segment_fixed_size 0
		.amdhsa_kernarg_size 328
		.amdhsa_user_sgpr_count 2
		.amdhsa_user_sgpr_dispatch_ptr 0
		.amdhsa_user_sgpr_queue_ptr 0
		.amdhsa_user_sgpr_kernarg_segment_ptr 1
		.amdhsa_user_sgpr_dispatch_id 0
		.amdhsa_user_sgpr_kernarg_preload_length 0
		.amdhsa_user_sgpr_kernarg_preload_offset 0
		.amdhsa_user_sgpr_private_segment_size 0
		.amdhsa_wavefront_size32 1
		.amdhsa_uses_dynamic_stack 0
		.amdhsa_enable_private_segment 0
		.amdhsa_system_sgpr_workgroup_id_x 1
		.amdhsa_system_sgpr_workgroup_id_y 0
		.amdhsa_system_sgpr_workgroup_id_z 0
		.amdhsa_system_sgpr_workgroup_info 0
		.amdhsa_system_vgpr_workitem_id 0
		.amdhsa_next_free_vgpr 24
		.amdhsa_next_free_sgpr 40
		.amdhsa_named_barrier_count 0
		.amdhsa_reserve_vcc 1
		.amdhsa_float_round_mode_32 0
		.amdhsa_float_round_mode_16_64 0
		.amdhsa_float_denorm_mode_32 3
		.amdhsa_float_denorm_mode_16_64 3
		.amdhsa_fp16_overflow 0
		.amdhsa_memory_ordered 1
		.amdhsa_forward_progress 1
		.amdhsa_inst_pref_size 10
		.amdhsa_round_robin_scheduling 0
		.amdhsa_exception_fp_ieee_invalid_op 0
		.amdhsa_exception_fp_denorm_src 0
		.amdhsa_exception_fp_ieee_div_zero 0
		.amdhsa_exception_fp_ieee_overflow 0
		.amdhsa_exception_fp_ieee_underflow 0
		.amdhsa_exception_fp_ieee_inexact 0
		.amdhsa_exception_int_div_zero 0
	.end_amdhsa_kernel
	.section	.text._ZL15concat_f32_contILi0EEvPKfS1_Pfllllll,"axG",@progbits,_ZL15concat_f32_contILi0EEvPKfS1_Pfllllll,comdat
.Lfunc_end0:
	.size	_ZL15concat_f32_contILi0EEvPKfS1_Pfllllll, .Lfunc_end0-_ZL15concat_f32_contILi0EEvPKfS1_Pfllllll
                                        ; -- End function
	.set _ZL15concat_f32_contILi0EEvPKfS1_Pfllllll.num_vgpr, 24
	.set _ZL15concat_f32_contILi0EEvPKfS1_Pfllllll.num_agpr, 0
	.set _ZL15concat_f32_contILi0EEvPKfS1_Pfllllll.numbered_sgpr, 40
	.set _ZL15concat_f32_contILi0EEvPKfS1_Pfllllll.num_named_barrier, 0
	.set _ZL15concat_f32_contILi0EEvPKfS1_Pfllllll.private_seg_size, 0
	.set _ZL15concat_f32_contILi0EEvPKfS1_Pfllllll.uses_vcc, 1
	.set _ZL15concat_f32_contILi0EEvPKfS1_Pfllllll.uses_flat_scratch, 0
	.set _ZL15concat_f32_contILi0EEvPKfS1_Pfllllll.has_dyn_sized_stack, 0
	.set _ZL15concat_f32_contILi0EEvPKfS1_Pfllllll.has_recursion, 0
	.set _ZL15concat_f32_contILi0EEvPKfS1_Pfllllll.has_indirect_call, 0
	.section	.AMDGPU.csdata,"",@progbits
; Kernel info:
; codeLenInByte = 1180
; TotalNumSgprs: 42
; NumVgprs: 24
; ScratchSize: 0
; MemoryBound: 0
; FloatMode: 240
; IeeeMode: 1
; LDSByteSize: 0 bytes/workgroup (compile time only)
; SGPRBlocks: 0
; VGPRBlocks: 1
; NumSGPRsForWavesPerEU: 42
; NumVGPRsForWavesPerEU: 24
; NamedBarCnt: 0
; Occupancy: 16
; WaveLimiterHint : 0
; COMPUTE_PGM_RSRC2:SCRATCH_EN: 0
; COMPUTE_PGM_RSRC2:USER_SGPR: 2
; COMPUTE_PGM_RSRC2:TRAP_HANDLER: 0
; COMPUTE_PGM_RSRC2:TGID_X_EN: 1
; COMPUTE_PGM_RSRC2:TGID_Y_EN: 0
; COMPUTE_PGM_RSRC2:TGID_Z_EN: 0
; COMPUTE_PGM_RSRC2:TIDIG_COMP_CNT: 0
	.section	.text._ZL15concat_f32_contILi1EEvPKfS1_Pfllllll,"axG",@progbits,_ZL15concat_f32_contILi1EEvPKfS1_Pfllllll,comdat
	.globl	_ZL15concat_f32_contILi1EEvPKfS1_Pfllllll ; -- Begin function _ZL15concat_f32_contILi1EEvPKfS1_Pfllllll
	.p2align	8
	.type	_ZL15concat_f32_contILi1EEvPKfS1_Pfllllll,@function
_ZL15concat_f32_contILi1EEvPKfS1_Pfllllll: ; @_ZL15concat_f32_contILi1EEvPKfS1_Pfllllll
; %bb.0:
	s_clause 0x2
	s_load_b32 s2, s[0:1], 0x54
	s_load_b128 s[8:11], s[0:1], 0x30
	s_load_b64 s[4:5], s[0:1], 0x40
	s_bfe_u32 s6, ttmp6, 0x4000c
	v_mov_b32_e32 v2, 0
	s_add_co_i32 s6, s6, 1
	s_and_b32 s3, ttmp6, 15
	s_mul_i32 s6, ttmp9, s6
	s_getreg_b32 s7, hwreg(HW_REG_IB_STS2, 6, 4)
	v_mov_b32_e32 v1, v2
	s_add_co_i32 s3, s3, s6
	s_wait_kmcnt 0x0
	s_and_b32 s2, s2, 0xffff
	s_cmp_eq_u32 s7, 0
	s_mul_u64 s[10:11], s[10:11], s[8:9]
	s_cselect_b32 s3, ttmp9, s3
	s_mul_u64 s[12:13], s[10:11], s[4:5]
	v_mad_nc_u64_u32 v[0:1], s2, s3, v[0:1]
	s_mov_b32 s3, 0
	s_mov_b32 s4, exec_lo
	s_delay_alu instid0(VALU_DEP_1)
	v_cmpx_gt_i64_e64 s[12:13], v[0:1]
	s_cbranch_execz .LBB1_11
; %bb.1:
	v_cvt_f32_u32_e32 v3, s10
	s_add_nc_u64 s[4:5], s[0:1], 0x48
	s_load_b64 s[16:17], s[0:1], 0x20
	s_load_b32 s18, s[4:5], 0x0
	s_wait_xcnt 0x0
	s_sub_co_i32 s4, 0, s10
	s_mov_b32 s19, s3
	v_rcp_iflag_f32_e32 v3, v3
	s_sub_nc_u64 s[22:23], 0, s[10:11]
	s_ashr_i32 s24, s11, 31
	v_nop
	s_delay_alu instid0(TRANS32_DEP_1) | instskip(NEXT) | instid1(VALU_DEP_1)
	v_mul_f32_e32 v3, 0x4f7ffffe, v3
	v_cvt_u32_f32_e32 v3, v3
	s_wait_kmcnt 0x0
	s_mul_u64 s[8:9], s[8:9], s[16:17]
	s_delay_alu instid0(VALU_DEP_1)
	v_mul_lo_u32 v4, s4, v3
	s_clause 0x1
	s_load_b128 s[4:7], s[0:1], 0x0
	s_load_b64 s[14:15], s[0:1], 0x10
	s_mul_u64 s[16:17], s[2:3], s[18:19]
	s_mov_b64 s[18:19], 0xffffffff
	s_lshl_b64 s[20:21], s[16:17], 2
	s_wait_xcnt 0x0
	s_mov_b32 s1, 0
	s_delay_alu instid0(VALU_DEP_1) | instskip(SKIP_1) | instid1(VALU_DEP_2)
	v_mul_hi_u32 v6, v3, v4
	v_lshlrev_b64_e32 v[4:5], 2, v[0:1]
	v_add_nc_u32_e32 v10, v3, v6
	s_branch .LBB1_3
.LBB1_2:                                ;   in Loop: Header=BB1_3 Depth=1
	s_or_b32 exec_lo, exec_lo, s0
	global_load_b32 v3, v[8:9], off
	v_add_nc_u64_e32 v[0:1], s[16:17], v[0:1]
	s_wait_kmcnt 0x0
	v_add_nc_u64_e32 v[6:7], s[14:15], v[4:5]
	v_add_nc_u64_e32 v[4:5], s[20:21], v[4:5]
	s_delay_alu instid0(VALU_DEP_3)
	v_cmp_le_i64_e32 vcc_lo, s[12:13], v[0:1]
	s_or_b32 s1, vcc_lo, s1
	s_wait_loadcnt 0x0
	global_store_b32 v[6:7], v3, off
	s_wait_xcnt 0x0
	s_and_not1_b32 exec_lo, exec_lo, s1
	s_cbranch_execz .LBB1_11
.LBB1_3:                                ; =>This Inner Loop Header: Depth=1
	v_or_b32_e32 v3, s11, v1
                                        ; implicit-def: $vgpr6_vgpr7
	s_mov_b32 s0, exec_lo
	s_delay_alu instid0(VALU_DEP_1)
	v_cmpx_ne_u64_e32 0, v[2:3]
	s_xor_b32 s28, exec_lo, s0
	s_cbranch_execz .LBB1_5
; %bb.4:                                ;   in Loop: Header=BB1_3 Depth=1
	s_mov_b32 s25, s24
	v_dual_mov_b32 v13, v2 :: v_dual_ashrrev_i32 v6, 31, v1
	s_add_nc_u64 s[26:27], s[10:11], s[24:25]
	s_delay_alu instid0(SALU_CYCLE_1) | instskip(NEXT) | instid1(VALU_DEP_1)
	s_xor_b64 s[26:27], s[26:27], s[24:25]
	v_mov_b32_e32 v7, v6
	s_cvt_f32_u32 s0, s26
	s_cvt_f32_u32 s2, s27
	s_sub_nc_u64 s[34:35], 0, s[26:27]
	s_delay_alu instid0(VALU_DEP_1) | instskip(NEXT) | instid1(SALU_CYCLE_1)
	v_add_nc_u64_e32 v[8:9], v[0:1], v[6:7]
	s_fmamk_f32 s0, s2, 0x4f800000, s0
	v_mov_b32_e32 v17, v2
	s_delay_alu instid0(SALU_CYCLE_2) | instskip(NEXT) | instid1(VALU_DEP_2)
	v_s_rcp_f32 s0, s0
	v_xor_b32_e32 v12, v8, v6
	s_delay_alu instid0(VALU_DEP_3) | instskip(NEXT) | instid1(TRANS32_DEP_1)
	v_dual_mov_b32 v21, v2 :: v_dual_bitop2_b32 v16, v9, v6 bitop3:0x14
	s_mul_f32 s0, s0, 0x5f7ffffc
	s_delay_alu instid0(SALU_CYCLE_3) | instskip(NEXT) | instid1(SALU_CYCLE_3)
	s_mul_f32 s2, s0, 0x2f800000
	s_trunc_f32 s2, s2
	s_delay_alu instid0(SALU_CYCLE_3) | instskip(SKIP_1) | instid1(SALU_CYCLE_2)
	s_fmamk_f32 s0, s2, 0xcf800000, s0
	s_cvt_u32_f32 s31, s2
	s_cvt_u32_f32 s30, s0
	s_delay_alu instid0(SALU_CYCLE_3) | instskip(NEXT) | instid1(SALU_CYCLE_1)
	s_mul_u64 s[36:37], s[34:35], s[30:31]
	s_mul_hi_u32 s39, s30, s37
	s_mul_i32 s38, s30, s37
	s_mul_hi_u32 s2, s30, s36
	s_mul_i32 s25, s31, s36
	s_add_nc_u64 s[38:39], s[2:3], s[38:39]
	s_mul_hi_u32 s0, s31, s36
	s_mul_hi_u32 s29, s31, s37
	s_add_co_u32 s2, s38, s25
	s_add_co_ci_u32 s2, s39, s0
	s_mul_i32 s36, s31, s37
	s_add_co_ci_u32 s37, s29, 0
	s_delay_alu instid0(SALU_CYCLE_1) | instskip(NEXT) | instid1(SALU_CYCLE_1)
	s_add_nc_u64 s[36:37], s[2:3], s[36:37]
	s_add_co_u32 s30, s30, s36
	s_cselect_b32 s0, -1, 0
	s_delay_alu instid0(SALU_CYCLE_1) | instskip(SKIP_1) | instid1(SALU_CYCLE_1)
	s_cmp_lg_u32 s0, 0
	s_add_co_ci_u32 s31, s31, s37
	s_mul_u64 s[34:35], s[34:35], s[30:31]
	s_delay_alu instid0(SALU_CYCLE_1)
	s_mul_hi_u32 s37, s30, s35
	s_mul_i32 s36, s30, s35
	s_mul_hi_u32 s2, s30, s34
	s_mul_i32 s25, s31, s34
	s_add_nc_u64 s[36:37], s[2:3], s[36:37]
	s_mul_hi_u32 s0, s31, s34
	s_mul_hi_u32 s29, s31, s35
	s_add_co_u32 s2, s36, s25
	s_add_co_ci_u32 s2, s37, s0
	s_mul_i32 s34, s31, s35
	s_add_co_ci_u32 s35, s29, 0
	s_delay_alu instid0(SALU_CYCLE_1) | instskip(NEXT) | instid1(SALU_CYCLE_1)
	s_add_nc_u64 s[34:35], s[2:3], s[34:35]
	s_add_co_u32 s0, s30, s34
	s_cselect_b32 s2, -1, 0
	v_mul_hi_u32 v20, v12, s0
	s_cmp_lg_u32 s2, 0
	s_add_co_ci_u32 s2, s31, s35
	s_and_b64 s[30:31], s[0:1], s[18:19]
	v_mul_u64_e32 v[14:15], s[2:3], v[12:13]
	v_mul_u64_e32 v[8:9], s[30:31], v[16:17]
	;; [unrolled: 1-line block ×3, first 2 shown]
	s_delay_alu instid0(VALU_DEP_3) | instskip(NEXT) | instid1(VALU_DEP_1)
	v_add_nc_u64_e32 v[14:15], v[20:21], v[14:15]
	v_add_co_u32 v3, vcc_lo, v14, v8
	s_delay_alu instid0(VALU_DEP_2) | instskip(NEXT) | instid1(VALU_DEP_4)
	v_add_co_ci_u32_e32 v20, vcc_lo, v15, v9, vcc_lo
	v_add_co_ci_u32_e32 v19, vcc_lo, 0, v19, vcc_lo
	s_delay_alu instid0(VALU_DEP_1) | instskip(NEXT) | instid1(VALU_DEP_1)
	v_add_nc_u64_e32 v[8:9], v[20:21], v[18:19]
	v_mul_u64_e32 v[14:15], s[26:27], v[8:9]
	s_delay_alu instid0(VALU_DEP_1) | instskip(NEXT) | instid1(VALU_DEP_2)
	v_sub_nc_u32_e32 v3, v16, v15
	v_sub_co_u32 v7, vcc_lo, v12, v14
	s_delay_alu instid0(VALU_DEP_1) | instskip(NEXT) | instid1(VALU_DEP_3)
	v_sub_co_ci_u32_e64 v16, null, v16, v15, vcc_lo
	v_subrev_co_ci_u32_e64 v3, null, s27, v3, vcc_lo
	s_delay_alu instid0(VALU_DEP_3) | instskip(SKIP_1) | instid1(VALU_DEP_3)
	v_sub_co_u32 v11, s0, v7, s26
	v_add_nc_u64_e32 v[14:15], 1, v[8:9]
	v_subrev_co_ci_u32_e64 v3, null, 0, v3, s0
	s_delay_alu instid0(VALU_DEP_3) | instskip(SKIP_1) | instid1(VALU_DEP_3)
	v_cmp_le_u32_e32 vcc_lo, s26, v11
	v_cndmask_b32_e64 v11, 0, -1, vcc_lo
	v_cmp_le_u32_e32 vcc_lo, s27, v3
	v_cndmask_b32_e64 v12, 0, -1, vcc_lo
	;; [unrolled: 2-line block ×4, first 2 shown]
	v_cmp_eq_u32_e32 vcc_lo, s27, v3
	v_cndmask_b32_e32 v3, v12, v11, vcc_lo
	v_cmp_eq_u32_e32 vcc_lo, s27, v16
	v_add_nc_u64_e32 v[12:13], 2, v[8:9]
	v_cndmask_b32_e32 v7, v17, v7, vcc_lo
	s_delay_alu instid0(VALU_DEP_4) | instskip(NEXT) | instid1(VALU_DEP_3)
	v_cmp_ne_u32_e32 vcc_lo, 0, v3
	v_cndmask_b32_e32 v3, v15, v13, vcc_lo
	s_delay_alu instid0(VALU_DEP_3) | instskip(SKIP_1) | instid1(VALU_DEP_2)
	v_cmp_ne_u32_e64 s0, 0, v7
	v_dual_cndmask_b32 v7, v14, v12, vcc_lo :: v_dual_bitop2_b32 v6, s24, v6 bitop3:0x14
	v_cndmask_b32_e64 v3, v9, v3, s0
	s_delay_alu instid0(VALU_DEP_2) | instskip(NEXT) | instid1(VALU_DEP_2)
	v_dual_cndmask_b32 v8, v8, v7, s0 :: v_dual_mov_b32 v7, v6
	v_xor_b32_e32 v9, v3, v6
	s_delay_alu instid0(VALU_DEP_2) | instskip(NEXT) | instid1(VALU_DEP_1)
	v_xor_b32_e32 v8, v8, v6
	v_sub_nc_u64_e32 v[6:7], v[8:9], v[6:7]
.LBB1_5:                                ;   in Loop: Header=BB1_3 Depth=1
	s_and_not1_saveexec_b32 s0, s28
	s_cbranch_execz .LBB1_7
; %bb.6:                                ;   in Loop: Header=BB1_3 Depth=1
	v_mul_hi_u32 v3, v0, v10
	s_delay_alu instid0(VALU_DEP_1) | instskip(NEXT) | instid1(VALU_DEP_1)
	v_mul_lo_u32 v6, v3, s10
	v_dual_add_nc_u32 v7, 1, v3 :: v_dual_sub_nc_u32 v6, v0, v6
	s_delay_alu instid0(VALU_DEP_1) | instskip(SKIP_1) | instid1(VALU_DEP_2)
	v_subrev_nc_u32_e32 v8, s10, v6
	v_cmp_le_u32_e32 vcc_lo, s10, v6
	v_dual_cndmask_b32 v6, v6, v8 :: v_dual_cndmask_b32 v3, v3, v7
	s_delay_alu instid0(VALU_DEP_1) | instskip(NEXT) | instid1(VALU_DEP_2)
	v_cmp_le_u32_e32 vcc_lo, s10, v6
	v_add_nc_u32_e32 v7, 1, v3
	s_delay_alu instid0(VALU_DEP_1)
	v_dual_cndmask_b32 v6, v3, v7 :: v_dual_mov_b32 v7, v2
.LBB1_7:                                ;   in Loop: Header=BB1_3 Depth=1
	s_or_b32 exec_lo, exec_lo, s0
	s_delay_alu instid0(VALU_DEP_1) | instskip(NEXT) | instid1(VALU_DEP_1)
	v_mad_nc_u64_u32 v[8:9], s22, v6, v[0:1]
	v_mad_u32 v3, s23, v6, v9
	s_delay_alu instid0(VALU_DEP_1) | instskip(NEXT) | instid1(VALU_DEP_1)
	v_mad_u32 v9, s22, v7, v3
	v_cmp_le_i64_e32 vcc_lo, s[8:9], v[8:9]
                                        ; implicit-def: $vgpr8_vgpr9
	s_and_saveexec_b32 s0, vcc_lo
	s_delay_alu instid0(SALU_CYCLE_1)
	s_xor_b32 s0, exec_lo, s0
	s_cbranch_execz .LBB1_9
; %bb.8:                                ;   in Loop: Header=BB1_3 Depth=1
	v_not_b32_e32 v3, v6
	v_not_b32_e32 v7, v7
	s_delay_alu instid0(VALU_DEP_2) | instskip(NEXT) | instid1(VALU_DEP_2)
	v_lshlrev_b32_e32 v6, 2, v3
	v_alignbit_b32 v3, v7, v3, 30
	s_delay_alu instid0(VALU_DEP_2) | instskip(NEXT) | instid1(VALU_DEP_1)
	v_mad_nc_u64_u32 v[8:9], s8, v6, v[4:5]
	v_mad_u32 v6, s9, v6, v9
	s_delay_alu instid0(VALU_DEP_1) | instskip(SKIP_1) | instid1(VALU_DEP_1)
	v_mad_u32 v9, s8, v3, v6
                                        ; implicit-def: $vgpr6_vgpr7
	s_wait_kmcnt 0x0
	v_add_nc_u64_e32 v[8:9], s[6:7], v[8:9]
.LBB1_9:                                ;   in Loop: Header=BB1_3 Depth=1
	s_and_not1_saveexec_b32 s0, s0
	s_cbranch_execz .LBB1_2
; %bb.10:                               ;   in Loop: Header=BB1_3 Depth=1
	v_mul_u64_e32 v[8:9], s[10:11], v[6:7]
	v_mul_u64_e32 v[6:7], s[8:9], v[6:7]
	s_delay_alu instid0(VALU_DEP_2) | instskip(SKIP_1) | instid1(VALU_DEP_2)
	v_sub_nc_u64_e32 v[8:9], v[0:1], v[8:9]
	s_wait_kmcnt 0x0
	v_lshl_add_u64 v[6:7], v[6:7], 2, s[4:5]
	s_delay_alu instid0(VALU_DEP_1)
	v_lshl_add_u64 v[8:9], v[8:9], 2, v[6:7]
	s_branch .LBB1_2
.LBB1_11:
	s_endpgm
	.section	.rodata,"a",@progbits
	.p2align	6, 0x0
	.amdhsa_kernel _ZL15concat_f32_contILi1EEvPKfS1_Pfllllll
		.amdhsa_group_segment_fixed_size 0
		.amdhsa_private_segment_fixed_size 0
		.amdhsa_kernarg_size 328
		.amdhsa_user_sgpr_count 2
		.amdhsa_user_sgpr_dispatch_ptr 0
		.amdhsa_user_sgpr_queue_ptr 0
		.amdhsa_user_sgpr_kernarg_segment_ptr 1
		.amdhsa_user_sgpr_dispatch_id 0
		.amdhsa_user_sgpr_kernarg_preload_length 0
		.amdhsa_user_sgpr_kernarg_preload_offset 0
		.amdhsa_user_sgpr_private_segment_size 0
		.amdhsa_wavefront_size32 1
		.amdhsa_uses_dynamic_stack 0
		.amdhsa_enable_private_segment 0
		.amdhsa_system_sgpr_workgroup_id_x 1
		.amdhsa_system_sgpr_workgroup_id_y 0
		.amdhsa_system_sgpr_workgroup_id_z 0
		.amdhsa_system_sgpr_workgroup_info 0
		.amdhsa_system_vgpr_workitem_id 0
		.amdhsa_next_free_vgpr 22
		.amdhsa_next_free_sgpr 40
		.amdhsa_named_barrier_count 0
		.amdhsa_reserve_vcc 1
		.amdhsa_float_round_mode_32 0
		.amdhsa_float_round_mode_16_64 0
		.amdhsa_float_denorm_mode_32 3
		.amdhsa_float_denorm_mode_16_64 3
		.amdhsa_fp16_overflow 0
		.amdhsa_memory_ordered 1
		.amdhsa_forward_progress 1
		.amdhsa_inst_pref_size 10
		.amdhsa_round_robin_scheduling 0
		.amdhsa_exception_fp_ieee_invalid_op 0
		.amdhsa_exception_fp_denorm_src 0
		.amdhsa_exception_fp_ieee_div_zero 0
		.amdhsa_exception_fp_ieee_overflow 0
		.amdhsa_exception_fp_ieee_underflow 0
		.amdhsa_exception_fp_ieee_inexact 0
		.amdhsa_exception_int_div_zero 0
	.end_amdhsa_kernel
	.section	.text._ZL15concat_f32_contILi1EEvPKfS1_Pfllllll,"axG",@progbits,_ZL15concat_f32_contILi1EEvPKfS1_Pfllllll,comdat
.Lfunc_end1:
	.size	_ZL15concat_f32_contILi1EEvPKfS1_Pfllllll, .Lfunc_end1-_ZL15concat_f32_contILi1EEvPKfS1_Pfllllll
                                        ; -- End function
	.set _ZL15concat_f32_contILi1EEvPKfS1_Pfllllll.num_vgpr, 22
	.set _ZL15concat_f32_contILi1EEvPKfS1_Pfllllll.num_agpr, 0
	.set _ZL15concat_f32_contILi1EEvPKfS1_Pfllllll.numbered_sgpr, 40
	.set _ZL15concat_f32_contILi1EEvPKfS1_Pfllllll.num_named_barrier, 0
	.set _ZL15concat_f32_contILi1EEvPKfS1_Pfllllll.private_seg_size, 0
	.set _ZL15concat_f32_contILi1EEvPKfS1_Pfllllll.uses_vcc, 1
	.set _ZL15concat_f32_contILi1EEvPKfS1_Pfllllll.uses_flat_scratch, 0
	.set _ZL15concat_f32_contILi1EEvPKfS1_Pfllllll.has_dyn_sized_stack, 0
	.set _ZL15concat_f32_contILi1EEvPKfS1_Pfllllll.has_recursion, 0
	.set _ZL15concat_f32_contILi1EEvPKfS1_Pfllllll.has_indirect_call, 0
	.section	.AMDGPU.csdata,"",@progbits
; Kernel info:
; codeLenInByte = 1204
; TotalNumSgprs: 42
; NumVgprs: 22
; ScratchSize: 0
; MemoryBound: 0
; FloatMode: 240
; IeeeMode: 1
; LDSByteSize: 0 bytes/workgroup (compile time only)
; SGPRBlocks: 0
; VGPRBlocks: 1
; NumSGPRsForWavesPerEU: 42
; NumVGPRsForWavesPerEU: 22
; NamedBarCnt: 0
; Occupancy: 16
; WaveLimiterHint : 0
; COMPUTE_PGM_RSRC2:SCRATCH_EN: 0
; COMPUTE_PGM_RSRC2:USER_SGPR: 2
; COMPUTE_PGM_RSRC2:TRAP_HANDLER: 0
; COMPUTE_PGM_RSRC2:TGID_X_EN: 1
; COMPUTE_PGM_RSRC2:TGID_Y_EN: 0
; COMPUTE_PGM_RSRC2:TGID_Z_EN: 0
; COMPUTE_PGM_RSRC2:TIDIG_COMP_CNT: 0
	.section	.text._ZL15concat_f32_contILi2EEvPKfS1_Pfllllll,"axG",@progbits,_ZL15concat_f32_contILi2EEvPKfS1_Pfllllll,comdat
	.globl	_ZL15concat_f32_contILi2EEvPKfS1_Pfllllll ; -- Begin function _ZL15concat_f32_contILi2EEvPKfS1_Pfllllll
	.p2align	8
	.type	_ZL15concat_f32_contILi2EEvPKfS1_Pfllllll,@function
_ZL15concat_f32_contILi2EEvPKfS1_Pfllllll: ; @_ZL15concat_f32_contILi2EEvPKfS1_Pfllllll
; %bb.0:
	s_clause 0x1
	s_load_b32 s2, s[0:1], 0x54
	s_load_b256 s[4:11], s[0:1], 0x28
	s_bfe_u32 s3, ttmp6, 0x4000c
	s_and_b32 s12, ttmp6, 15
	s_add_co_i32 s3, s3, 1
	s_getreg_b32 s13, hwreg(HW_REG_IB_STS2, 6, 4)
	s_mul_i32 s3, ttmp9, s3
	v_mov_b32_e32 v1, 0
	s_add_co_i32 s12, s12, s3
	s_cmp_eq_u32 s13, 0
	s_mov_b32 s3, 0
	s_cselect_b32 s12, ttmp9, s12
	s_mov_b32 s13, s3
	s_wait_kmcnt 0x0
	s_and_b32 s2, s2, 0xffff
	s_mul_u64 s[8:9], s[8:9], s[6:7]
	s_mul_u64 s[12:13], s[2:3], s[12:13]
	;; [unrolled: 1-line block ×3, first 2 shown]
	v_add_nc_u64_e32 v[2:3], s[12:13], v[0:1]
	s_mov_b32 s10, exec_lo
	s_delay_alu instid0(VALU_DEP_1)
	v_cmpx_gt_i64_e64 s[6:7], v[2:3]
	s_cbranch_execz .LBB2_3
; %bb.1:
	s_clause 0x1
	s_load_b128 s[16:19], s[0:1], 0x0
	s_load_b64 s[10:11], s[0:1], 0x10
	s_wait_xcnt 0x0
	s_add_nc_u64 s[0:1], s[0:1], 0x48
	v_lshlrev_b32_e32 v0, 2, v0
	s_load_b32 s14, s[0:1], 0x0
	s_wait_xcnt 0x0
	s_mul_u64 s[0:1], s[8:9], s[4:5]
	s_mov_b32 s15, s3
	s_lshl_b64 s[4:5], s[0:1], 2
	s_lshl_b64 s[8:9], s[12:13], 2
	v_sub_nc_u64_e64 v[4:5], v[0:1], s[4:5]
	s_wait_kmcnt 0x0
	s_delay_alu instid0(VALU_DEP_1) | instskip(SKIP_3) | instid1(SALU_CYCLE_1)
	v_add_nc_u64_e32 v[4:5], s[18:19], v[4:5]
	v_add_nc_u64_e32 v[6:7], s[16:17], v[0:1]
	;; [unrolled: 1-line block ×3, first 2 shown]
	s_mul_u64 s[4:5], s[2:3], s[14:15]
	s_lshl_b64 s[10:11], s[4:5], 2
.LBB2_2:                                ; =>This Inner Loop Header: Depth=1
	s_delay_alu instid0(VALU_DEP_2) | instskip(NEXT) | instid1(VALU_DEP_4)
	v_add_nc_u64_e32 v[8:9], s[8:9], v[6:7]
	v_add_nc_u64_e32 v[10:11], s[8:9], v[4:5]
	v_cmp_gt_i64_e32 vcc_lo, s[0:1], v[2:3]
	v_add_nc_u64_e32 v[2:3], s[4:5], v[2:3]
	s_delay_alu instid0(VALU_DEP_3) | instskip(NEXT) | instid1(VALU_DEP_2)
	v_dual_cndmask_b32 v9, v11, v9 :: v_dual_cndmask_b32 v8, v10, v8
	v_cmp_le_i64_e32 vcc_lo, s[6:7], v[2:3]
	global_load_b32 v10, v[8:9], off
	s_wait_xcnt 0x0
	v_add_nc_u64_e32 v[8:9], s[8:9], v[0:1]
	s_add_nc_u64 s[8:9], s[8:9], s[10:11]
	s_or_b32 s3, vcc_lo, s3
	s_wait_loadcnt 0x0
	global_store_b32 v[8:9], v10, off
	s_wait_xcnt 0x0
	s_and_not1_b32 exec_lo, exec_lo, s3
	s_cbranch_execnz .LBB2_2
.LBB2_3:
	s_endpgm
	.section	.rodata,"a",@progbits
	.p2align	6, 0x0
	.amdhsa_kernel _ZL15concat_f32_contILi2EEvPKfS1_Pfllllll
		.amdhsa_group_segment_fixed_size 0
		.amdhsa_private_segment_fixed_size 0
		.amdhsa_kernarg_size 328
		.amdhsa_user_sgpr_count 2
		.amdhsa_user_sgpr_dispatch_ptr 0
		.amdhsa_user_sgpr_queue_ptr 0
		.amdhsa_user_sgpr_kernarg_segment_ptr 1
		.amdhsa_user_sgpr_dispatch_id 0
		.amdhsa_user_sgpr_kernarg_preload_length 0
		.amdhsa_user_sgpr_kernarg_preload_offset 0
		.amdhsa_user_sgpr_private_segment_size 0
		.amdhsa_wavefront_size32 1
		.amdhsa_uses_dynamic_stack 0
		.amdhsa_enable_private_segment 0
		.amdhsa_system_sgpr_workgroup_id_x 1
		.amdhsa_system_sgpr_workgroup_id_y 0
		.amdhsa_system_sgpr_workgroup_id_z 0
		.amdhsa_system_sgpr_workgroup_info 0
		.amdhsa_system_vgpr_workitem_id 0
		.amdhsa_next_free_vgpr 12
		.amdhsa_next_free_sgpr 20
		.amdhsa_named_barrier_count 0
		.amdhsa_reserve_vcc 1
		.amdhsa_float_round_mode_32 0
		.amdhsa_float_round_mode_16_64 0
		.amdhsa_float_denorm_mode_32 3
		.amdhsa_float_denorm_mode_16_64 3
		.amdhsa_fp16_overflow 0
		.amdhsa_memory_ordered 1
		.amdhsa_forward_progress 1
		.amdhsa_inst_pref_size 3
		.amdhsa_round_robin_scheduling 0
		.amdhsa_exception_fp_ieee_invalid_op 0
		.amdhsa_exception_fp_denorm_src 0
		.amdhsa_exception_fp_ieee_div_zero 0
		.amdhsa_exception_fp_ieee_overflow 0
		.amdhsa_exception_fp_ieee_underflow 0
		.amdhsa_exception_fp_ieee_inexact 0
		.amdhsa_exception_int_div_zero 0
	.end_amdhsa_kernel
	.section	.text._ZL15concat_f32_contILi2EEvPKfS1_Pfllllll,"axG",@progbits,_ZL15concat_f32_contILi2EEvPKfS1_Pfllllll,comdat
.Lfunc_end2:
	.size	_ZL15concat_f32_contILi2EEvPKfS1_Pfllllll, .Lfunc_end2-_ZL15concat_f32_contILi2EEvPKfS1_Pfllllll
                                        ; -- End function
	.set _ZL15concat_f32_contILi2EEvPKfS1_Pfllllll.num_vgpr, 12
	.set _ZL15concat_f32_contILi2EEvPKfS1_Pfllllll.num_agpr, 0
	.set _ZL15concat_f32_contILi2EEvPKfS1_Pfllllll.numbered_sgpr, 20
	.set _ZL15concat_f32_contILi2EEvPKfS1_Pfllllll.num_named_barrier, 0
	.set _ZL15concat_f32_contILi2EEvPKfS1_Pfllllll.private_seg_size, 0
	.set _ZL15concat_f32_contILi2EEvPKfS1_Pfllllll.uses_vcc, 1
	.set _ZL15concat_f32_contILi2EEvPKfS1_Pfllllll.uses_flat_scratch, 0
	.set _ZL15concat_f32_contILi2EEvPKfS1_Pfllllll.has_dyn_sized_stack, 0
	.set _ZL15concat_f32_contILi2EEvPKfS1_Pfllllll.has_recursion, 0
	.set _ZL15concat_f32_contILi2EEvPKfS1_Pfllllll.has_indirect_call, 0
	.section	.AMDGPU.csdata,"",@progbits
; Kernel info:
; codeLenInByte = 312
; TotalNumSgprs: 22
; NumVgprs: 12
; ScratchSize: 0
; MemoryBound: 0
; FloatMode: 240
; IeeeMode: 1
; LDSByteSize: 0 bytes/workgroup (compile time only)
; SGPRBlocks: 0
; VGPRBlocks: 0
; NumSGPRsForWavesPerEU: 22
; NumVGPRsForWavesPerEU: 12
; NamedBarCnt: 0
; Occupancy: 16
; WaveLimiterHint : 0
; COMPUTE_PGM_RSRC2:SCRATCH_EN: 0
; COMPUTE_PGM_RSRC2:USER_SGPR: 2
; COMPUTE_PGM_RSRC2:TRAP_HANDLER: 0
; COMPUTE_PGM_RSRC2:TGID_X_EN: 1
; COMPUTE_PGM_RSRC2:TGID_Y_EN: 0
; COMPUTE_PGM_RSRC2:TGID_Z_EN: 0
; COMPUTE_PGM_RSRC2:TIDIG_COMP_CNT: 0
	.section	.text._ZL19concat_f32_non_contILi0EEvPKcS1_Pcllllmmmmllllmmmmllllmmmm,"axG",@progbits,_ZL19concat_f32_non_contILi0EEvPKcS1_Pcllllmmmmllllmmmmllllmmmm,comdat
	.globl	_ZL19concat_f32_non_contILi0EEvPKcS1_Pcllllmmmmllllmmmmllllmmmm ; -- Begin function _ZL19concat_f32_non_contILi0EEvPKcS1_Pcllllmmmmllllmmmmllllmmmm
	.p2align	8
	.type	_ZL19concat_f32_non_contILi0EEvPKcS1_Pcllllmmmmllllmmmmllllmmmm,@function
_ZL19concat_f32_non_contILi0EEvPKcS1_Pcllllmmmmllllmmmmllllmmmm: ; @_ZL19concat_f32_non_contILi0EEvPKcS1_Pcllllmmmmllllmmmmllllmmmm
; %bb.0:
	s_load_b64 s[2:3], s[0:1], 0x98
	v_mov_b32_e32 v1, 0
	s_mov_b32 s4, exec_lo
	s_wait_kmcnt 0x0
	s_delay_alu instid0(VALU_DEP_1)
	v_cmpx_gt_i64_e64 s[2:3], v[0:1]
	s_cbranch_execz .LBB3_5
; %bb.1:
	s_clause 0x4
	s_load_b256 s[20:27], s[0:1], 0x78
	s_load_b512 s[4:19], s[0:1], 0x0
	s_load_b64 s[44:45], s[0:1], 0x50
	s_load_b128 s[28:31], s[0:1], 0x40
	s_load_b256 s[36:43], s[0:1], 0xb8
	s_bfe_u32 s33, ttmp6, 0x40014
	s_lshr_b32 s48, ttmp7, 16
	s_add_co_i32 s33, s33, 1
	s_bfe_u32 s35, ttmp6, 0x40010
	s_mul_i32 s33, s48, s33
	s_bfe_u32 s34, ttmp6, 0x40008
	s_and_b32 s46, ttmp7, 0xffff
	s_add_co_i32 s35, s35, 1
	s_bfe_u32 s47, ttmp6, 0x4000c
	s_add_co_i32 s33, s34, s33
	s_mul_i32 s34, s46, s35
	s_bfe_u32 s35, ttmp6, 0x40004
	s_add_co_i32 s47, s47, 1
	s_add_co_i32 s49, s35, s34
	s_and_b32 s34, ttmp6, 15
	s_mul_i32 s35, ttmp9, s47
	s_getreg_b32 s47, hwreg(HW_REG_IB_STS2, 6, 4)
	s_add_co_i32 s34, s34, s35
	s_cmp_eq_u32 s47, 0
	s_mov_b32 s35, 0
	s_cselect_b32 s34, ttmp9, s34
	s_cselect_b32 s46, s46, s49
	s_mov_b32 s47, s35
	s_cselect_b32 s48, s48, s33
	s_mov_b32 s49, s35
	s_wait_kmcnt 0x0
	v_cmp_gt_i64_e64 s33, s[12:13], s[34:35]
	v_cmp_gt_i64_e64 s50, s[14:15], s[46:47]
	s_mul_u64 s[12:13], s[44:45], s[48:49]
	s_mul_u64 s[14:15], s[30:31], s[46:47]
	s_mul_u64 s[30:31], s[42:43], s[48:49]
	s_mul_u64 s[40:41], s[40:41], s[46:47]
	s_mul_u64 s[28:29], s[28:29], s[34:35]
	s_mul_u64 s[38:39], s[38:39], s[34:35]
	s_load_b32 s42, s[0:1], 0xe4
	s_wait_xcnt 0x0
	s_add_nc_u64 s[0:1], s[12:13], s[14:15]
	s_add_nc_u64 s[12:13], s[30:31], s[40:41]
	;; [unrolled: 1-line block ×6, first 2 shown]
	v_mad_nc_u64_u32 v[2:3], s18, v0, s[0:1]
	v_mad_nc_u64_u32 v[4:5], s36, v0, s[4:5]
	v_cmp_gt_i64_e64 s8, s[16:17], s[48:49]
	s_mul_u64 s[0:1], s[26:27], s[48:49]
	s_and_b32 s9, s33, s50
	s_add_nc_u64 s[0:1], s[6:7], s[0:1]
	s_mul_u64 s[4:5], s[24:25], s[46:47]
	s_delay_alu instid0(SALU_CYCLE_1)
	s_add_nc_u64 s[0:1], s[0:1], s[4:5]
	s_and_b32 s8, s9, s8
	s_mul_u64 s[4:5], s[22:23], s[34:35]
	v_mad_u32 v3, s19, v0, v3
	v_mad_u32 v5, s37, v0, v5
	s_wait_kmcnt 0x0
	s_and_b32 s34, s42, 0xffff
	s_add_nc_u64 s[0:1], s[0:1], s[4:5]
	s_mul_u64 s[4:5], s[18:19], s[34:35]
	s_mul_u64 s[6:7], s[36:37], s[34:35]
	s_xor_b32 s8, s8, -1
	s_mov_b32 s9, s35
	s_branch .LBB3_3
.LBB3_2:                                ;   in Loop: Header=BB3_3 Depth=1
	s_or_b32 exec_lo, exec_lo, s12
	global_load_b32 v6, v[6:7], off
	v_add_nc_u64_e32 v[0:1], s[34:35], v[0:1]
	v_add_nc_u64_e32 v[2:3], s[4:5], v[2:3]
	s_delay_alu instid0(VALU_DEP_2)
	v_cmp_le_i64_e32 vcc_lo, s[2:3], v[0:1]
	s_or_b32 s9, vcc_lo, s9
	s_wait_loadcnt 0x0
	global_store_b32 v[4:5], v6, off
	s_wait_xcnt 0x0
	v_add_nc_u64_e32 v[4:5], s[6:7], v[4:5]
	s_and_not1_b32 exec_lo, exec_lo, s9
	s_cbranch_execz .LBB3_5
.LBB3_3:                                ; =>This Inner Loop Header: Depth=1
	v_cmp_le_i64_e32 vcc_lo, s[10:11], v[0:1]
	v_mov_b64_e32 v[6:7], v[2:3]
	s_or_b32 s13, vcc_lo, s8
	s_delay_alu instid0(SALU_CYCLE_1)
	s_and_saveexec_b32 s12, s13
	s_cbranch_execz .LBB3_2
; %bb.4:                                ;   in Loop: Header=BB3_3 Depth=1
	v_sub_nc_u64_e64 v[8:9], v[0:1], s[10:11]
	s_delay_alu instid0(VALU_DEP_1) | instskip(NEXT) | instid1(VALU_DEP_1)
	v_mad_nc_u64_u32 v[6:7], v8, s20, s[0:1]
	v_mad_u32 v7, v9, s20, v7
	s_delay_alu instid0(VALU_DEP_1)
	v_mad_u32 v7, v8, s21, v7
	s_branch .LBB3_2
.LBB3_5:
	s_endpgm
	.section	.rodata,"a",@progbits
	.p2align	6, 0x0
	.amdhsa_kernel _ZL19concat_f32_non_contILi0EEvPKcS1_Pcllllmmmmllllmmmmllllmmmm
		.amdhsa_group_segment_fixed_size 0
		.amdhsa_private_segment_fixed_size 0
		.amdhsa_kernarg_size 472
		.amdhsa_user_sgpr_count 2
		.amdhsa_user_sgpr_dispatch_ptr 0
		.amdhsa_user_sgpr_queue_ptr 0
		.amdhsa_user_sgpr_kernarg_segment_ptr 1
		.amdhsa_user_sgpr_dispatch_id 0
		.amdhsa_user_sgpr_kernarg_preload_length 0
		.amdhsa_user_sgpr_kernarg_preload_offset 0
		.amdhsa_user_sgpr_private_segment_size 0
		.amdhsa_wavefront_size32 1
		.amdhsa_uses_dynamic_stack 0
		.amdhsa_enable_private_segment 0
		.amdhsa_system_sgpr_workgroup_id_x 1
		.amdhsa_system_sgpr_workgroup_id_y 1
		.amdhsa_system_sgpr_workgroup_id_z 1
		.amdhsa_system_sgpr_workgroup_info 0
		.amdhsa_system_vgpr_workitem_id 0
		.amdhsa_next_free_vgpr 10
		.amdhsa_next_free_sgpr 51
		.amdhsa_named_barrier_count 0
		.amdhsa_reserve_vcc 1
		.amdhsa_float_round_mode_32 0
		.amdhsa_float_round_mode_16_64 0
		.amdhsa_float_denorm_mode_32 3
		.amdhsa_float_denorm_mode_16_64 3
		.amdhsa_fp16_overflow 0
		.amdhsa_memory_ordered 1
		.amdhsa_forward_progress 1
		.amdhsa_inst_pref_size 5
		.amdhsa_round_robin_scheduling 0
		.amdhsa_exception_fp_ieee_invalid_op 0
		.amdhsa_exception_fp_denorm_src 0
		.amdhsa_exception_fp_ieee_div_zero 0
		.amdhsa_exception_fp_ieee_overflow 0
		.amdhsa_exception_fp_ieee_underflow 0
		.amdhsa_exception_fp_ieee_inexact 0
		.amdhsa_exception_int_div_zero 0
	.end_amdhsa_kernel
	.section	.text._ZL19concat_f32_non_contILi0EEvPKcS1_Pcllllmmmmllllmmmmllllmmmm,"axG",@progbits,_ZL19concat_f32_non_contILi0EEvPKcS1_Pcllllmmmmllllmmmmllllmmmm,comdat
.Lfunc_end3:
	.size	_ZL19concat_f32_non_contILi0EEvPKcS1_Pcllllmmmmllllmmmmllllmmmm, .Lfunc_end3-_ZL19concat_f32_non_contILi0EEvPKcS1_Pcllllmmmmllllmmmmllllmmmm
                                        ; -- End function
	.set _ZL19concat_f32_non_contILi0EEvPKcS1_Pcllllmmmmllllmmmmllllmmmm.num_vgpr, 10
	.set _ZL19concat_f32_non_contILi0EEvPKcS1_Pcllllmmmmllllmmmmllllmmmm.num_agpr, 0
	.set _ZL19concat_f32_non_contILi0EEvPKcS1_Pcllllmmmmllllmmmmllllmmmm.numbered_sgpr, 51
	.set _ZL19concat_f32_non_contILi0EEvPKcS1_Pcllllmmmmllllmmmmllllmmmm.num_named_barrier, 0
	.set _ZL19concat_f32_non_contILi0EEvPKcS1_Pcllllmmmmllllmmmmllllmmmm.private_seg_size, 0
	.set _ZL19concat_f32_non_contILi0EEvPKcS1_Pcllllmmmmllllmmmmllllmmmm.uses_vcc, 1
	.set _ZL19concat_f32_non_contILi0EEvPKcS1_Pcllllmmmmllllmmmmllllmmmm.uses_flat_scratch, 0
	.set _ZL19concat_f32_non_contILi0EEvPKcS1_Pcllllmmmmllllmmmmllllmmmm.has_dyn_sized_stack, 0
	.set _ZL19concat_f32_non_contILi0EEvPKcS1_Pcllllmmmmllllmmmmllllmmmm.has_recursion, 0
	.set _ZL19concat_f32_non_contILi0EEvPKcS1_Pcllllmmmmllllmmmmllllmmmm.has_indirect_call, 0
	.section	.AMDGPU.csdata,"",@progbits
; Kernel info:
; codeLenInByte = 532
; TotalNumSgprs: 53
; NumVgprs: 10
; ScratchSize: 0
; MemoryBound: 0
; FloatMode: 240
; IeeeMode: 1
; LDSByteSize: 0 bytes/workgroup (compile time only)
; SGPRBlocks: 0
; VGPRBlocks: 0
; NumSGPRsForWavesPerEU: 53
; NumVGPRsForWavesPerEU: 10
; NamedBarCnt: 0
; Occupancy: 16
; WaveLimiterHint : 1
; COMPUTE_PGM_RSRC2:SCRATCH_EN: 0
; COMPUTE_PGM_RSRC2:USER_SGPR: 2
; COMPUTE_PGM_RSRC2:TRAP_HANDLER: 0
; COMPUTE_PGM_RSRC2:TGID_X_EN: 1
; COMPUTE_PGM_RSRC2:TGID_Y_EN: 1
; COMPUTE_PGM_RSRC2:TGID_Z_EN: 1
; COMPUTE_PGM_RSRC2:TIDIG_COMP_CNT: 0
	.section	.text._ZL19concat_f32_non_contILi1EEvPKcS1_Pcllllmmmmllllmmmmllllmmmm,"axG",@progbits,_ZL19concat_f32_non_contILi1EEvPKcS1_Pcllllmmmmllllmmmmllllmmmm,comdat
	.globl	_ZL19concat_f32_non_contILi1EEvPKcS1_Pcllllmmmmllllmmmmllllmmmm ; -- Begin function _ZL19concat_f32_non_contILi1EEvPKcS1_Pcllllmmmmllllmmmmllllmmmm
	.p2align	8
	.type	_ZL19concat_f32_non_contILi1EEvPKcS1_Pcllllmmmmllllmmmmllllmmmm,@function
_ZL19concat_f32_non_contILi1EEvPKcS1_Pcllllmmmmllllmmmmllllmmmm: ; @_ZL19concat_f32_non_contILi1EEvPKcS1_Pcllllmmmmllllmmmmllllmmmm
; %bb.0:
	s_load_b64 s[2:3], s[0:1], 0x98
	v_mov_b32_e32 v1, 0
	s_mov_b32 s4, exec_lo
	s_wait_kmcnt 0x0
	s_delay_alu instid0(VALU_DEP_1)
	v_cmpx_gt_i64_e64 s[2:3], v[0:1]
	s_cbranch_execz .LBB4_3
; %bb.1:
	s_clause 0x4
	s_load_b256 s[36:43], s[0:1], 0xb8
	s_load_b256 s[20:27], s[0:1], 0x78
	s_load_b512 s[4:19], s[0:1], 0x0
	s_load_b64 s[44:45], s[0:1], 0x50
	s_load_b128 s[28:31], s[0:1], 0x40
	s_bfe_u32 s33, ttmp6, 0x40014
	s_lshr_b32 s48, ttmp7, 16
	s_add_co_i32 s33, s33, 1
	s_bfe_u32 s35, ttmp6, 0x40010
	s_mul_i32 s33, s48, s33
	s_bfe_u32 s34, ttmp6, 0x40008
	s_and_b32 s46, ttmp7, 0xffff
	s_add_co_i32 s35, s35, 1
	s_bfe_u32 s47, ttmp6, 0x4000c
	s_add_co_i32 s33, s34, s33
	s_mul_i32 s34, s46, s35
	s_bfe_u32 s35, ttmp6, 0x40004
	s_add_co_i32 s47, s47, 1
	s_add_co_i32 s49, s35, s34
	s_and_b32 s34, ttmp6, 15
	s_mul_i32 s35, ttmp9, s47
	s_getreg_b32 s47, hwreg(HW_REG_IB_STS2, 6, 4)
	s_add_co_i32 s34, s34, s35
	s_cmp_eq_u32 s47, 0
	s_mov_b32 s35, 0
	s_cselect_b32 s46, s46, s49
	s_mov_b32 s47, s35
	s_cselect_b32 s48, s48, s33
	s_mov_b32 s49, s35
	s_cselect_b32 s34, ttmp9, s34
	s_wait_kmcnt 0x0
	v_cmp_gt_i64_e64 s33, s[14:15], s[46:47]
	v_cmp_gt_i64_e64 s50, s[16:17], s[48:49]
	s_mul_u64 s[14:15], s[42:43], s[48:49]
	s_mul_u64 s[16:17], s[40:41], s[46:47]
	;; [unrolled: 1-line block ×3, first 2 shown]
	s_load_b32 s40, s[0:1], 0xe4
	s_wait_xcnt 0x0
	s_add_nc_u64 s[0:1], s[14:15], s[16:17]
	s_mul_u64 s[14:15], s[26:27], s[48:49]
	s_add_nc_u64 s[0:1], s[0:1], s[38:39]
	v_cmp_lt_i64_e64 s51, s[34:35], s[12:13]
	s_add_nc_u64 s[0:1], s[8:9], s[0:1]
	s_add_nc_u64 s[8:9], s[6:7], s[14:15]
	v_mad_nc_u64_u32 v[2:3], s36, v0, s[0:1]
	s_mul_u64 s[0:1], s[24:25], s[46:47]
	s_sub_nc_u64 s[12:13], s[34:35], s[12:13]
	s_add_nc_u64 s[0:1], s[8:9], s[0:1]
	s_mul_u64 s[8:9], s[44:45], s[48:49]
	v_dual_mov_b32 v4, s19 :: v_dual_mov_b32 v5, s18
	s_add_nc_u64 s[4:5], s[4:5], s[8:9]
	s_mul_u64 s[8:9], s[30:31], s[46:47]
	s_and_b32 s16, s33, s50
	s_add_nc_u64 s[4:5], s[4:5], s[8:9]
	s_delay_alu instid0(VALU_DEP_2)
	v_mad_u32 v3, s37, v0, v3
	s_mul_u64 s[8:9], s[28:29], s[34:35]
	s_mul_u64 s[12:13], s[22:23], s[12:13]
	s_add_nc_u64 s[4:5], s[4:5], s[8:9]
	s_wait_kmcnt 0x0
	s_and_b32 s34, s40, 0xffff
	v_dual_mov_b32 v6, s5 :: v_dual_mov_b32 v7, s4
	s_and_b32 s6, s16, s51
	s_add_nc_u64 s[0:1], s[0:1], s[12:13]
	s_mul_u64 s[4:5], s[36:37], s[34:35]
	s_mov_b32 s7, s35
.LBB4_2:                                ; =>This Inner Loop Header: Depth=1
	v_cmp_gt_i64_e32 vcc_lo, s[10:11], v[0:1]
	s_and_b32 vcc_lo, vcc_lo, s6
	v_cndmask_b32_e32 v11, s20, v5, vcc_lo
	v_cndmask_b32_e32 v9, s1, v6, vcc_lo
	;; [unrolled: 1-line block ×4, first 2 shown]
	s_delay_alu instid0(VALU_DEP_2) | instskip(NEXT) | instid1(VALU_DEP_1)
	v_mad_nc_u64_u32 v[8:9], v0, v11, v[8:9]
	v_mad_u32 v9, v1, v11, v9
	s_delay_alu instid0(VALU_DEP_1) | instskip(SKIP_1) | instid1(VALU_DEP_1)
	v_mad_u32 v9, v0, v10, v9
	v_add_nc_u64_e32 v[0:1], s[34:35], v[0:1]
	v_cmp_le_i64_e32 vcc_lo, s[2:3], v[0:1]
	global_load_b32 v8, v[8:9], off
	s_or_b32 s7, vcc_lo, s7
	s_wait_loadcnt 0x0
	global_store_b32 v[2:3], v8, off
	s_wait_xcnt 0x0
	v_add_nc_u64_e32 v[2:3], s[4:5], v[2:3]
	s_and_not1_b32 exec_lo, exec_lo, s7
	s_cbranch_execnz .LBB4_2
.LBB4_3:
	s_endpgm
	.section	.rodata,"a",@progbits
	.p2align	6, 0x0
	.amdhsa_kernel _ZL19concat_f32_non_contILi1EEvPKcS1_Pcllllmmmmllllmmmmllllmmmm
		.amdhsa_group_segment_fixed_size 0
		.amdhsa_private_segment_fixed_size 0
		.amdhsa_kernarg_size 472
		.amdhsa_user_sgpr_count 2
		.amdhsa_user_sgpr_dispatch_ptr 0
		.amdhsa_user_sgpr_queue_ptr 0
		.amdhsa_user_sgpr_kernarg_segment_ptr 1
		.amdhsa_user_sgpr_dispatch_id 0
		.amdhsa_user_sgpr_kernarg_preload_length 0
		.amdhsa_user_sgpr_kernarg_preload_offset 0
		.amdhsa_user_sgpr_private_segment_size 0
		.amdhsa_wavefront_size32 1
		.amdhsa_uses_dynamic_stack 0
		.amdhsa_enable_private_segment 0
		.amdhsa_system_sgpr_workgroup_id_x 1
		.amdhsa_system_sgpr_workgroup_id_y 1
		.amdhsa_system_sgpr_workgroup_id_z 1
		.amdhsa_system_sgpr_workgroup_info 0
		.amdhsa_system_vgpr_workitem_id 0
		.amdhsa_next_free_vgpr 12
		.amdhsa_next_free_sgpr 52
		.amdhsa_named_barrier_count 0
		.amdhsa_reserve_vcc 1
		.amdhsa_float_round_mode_32 0
		.amdhsa_float_round_mode_16_64 0
		.amdhsa_float_denorm_mode_32 3
		.amdhsa_float_denorm_mode_16_64 3
		.amdhsa_fp16_overflow 0
		.amdhsa_memory_ordered 1
		.amdhsa_forward_progress 1
		.amdhsa_inst_pref_size 4
		.amdhsa_round_robin_scheduling 0
		.amdhsa_exception_fp_ieee_invalid_op 0
		.amdhsa_exception_fp_denorm_src 0
		.amdhsa_exception_fp_ieee_div_zero 0
		.amdhsa_exception_fp_ieee_overflow 0
		.amdhsa_exception_fp_ieee_underflow 0
		.amdhsa_exception_fp_ieee_inexact 0
		.amdhsa_exception_int_div_zero 0
	.end_amdhsa_kernel
	.section	.text._ZL19concat_f32_non_contILi1EEvPKcS1_Pcllllmmmmllllmmmmllllmmmm,"axG",@progbits,_ZL19concat_f32_non_contILi1EEvPKcS1_Pcllllmmmmllllmmmmllllmmmm,comdat
.Lfunc_end4:
	.size	_ZL19concat_f32_non_contILi1EEvPKcS1_Pcllllmmmmllllmmmmllllmmmm, .Lfunc_end4-_ZL19concat_f32_non_contILi1EEvPKcS1_Pcllllmmmmllllmmmmllllmmmm
                                        ; -- End function
	.set _ZL19concat_f32_non_contILi1EEvPKcS1_Pcllllmmmmllllmmmmllllmmmm.num_vgpr, 12
	.set _ZL19concat_f32_non_contILi1EEvPKcS1_Pcllllmmmmllllmmmmllllmmmm.num_agpr, 0
	.set _ZL19concat_f32_non_contILi1EEvPKcS1_Pcllllmmmmllllmmmmllllmmmm.numbered_sgpr, 52
	.set _ZL19concat_f32_non_contILi1EEvPKcS1_Pcllllmmmmllllmmmmllllmmmm.num_named_barrier, 0
	.set _ZL19concat_f32_non_contILi1EEvPKcS1_Pcllllmmmmllllmmmmllllmmmm.private_seg_size, 0
	.set _ZL19concat_f32_non_contILi1EEvPKcS1_Pcllllmmmmllllmmmmllllmmmm.uses_vcc, 1
	.set _ZL19concat_f32_non_contILi1EEvPKcS1_Pcllllmmmmllllmmmmllllmmmm.uses_flat_scratch, 0
	.set _ZL19concat_f32_non_contILi1EEvPKcS1_Pcllllmmmmllllmmmmllllmmmm.has_dyn_sized_stack, 0
	.set _ZL19concat_f32_non_contILi1EEvPKcS1_Pcllllmmmmllllmmmmllllmmmm.has_recursion, 0
	.set _ZL19concat_f32_non_contILi1EEvPKcS1_Pcllllmmmmllllmmmmllllmmmm.has_indirect_call, 0
	.section	.AMDGPU.csdata,"",@progbits
; Kernel info:
; codeLenInByte = 500
; TotalNumSgprs: 54
; NumVgprs: 12
; ScratchSize: 0
; MemoryBound: 0
; FloatMode: 240
; IeeeMode: 1
; LDSByteSize: 0 bytes/workgroup (compile time only)
; SGPRBlocks: 0
; VGPRBlocks: 0
; NumSGPRsForWavesPerEU: 54
; NumVGPRsForWavesPerEU: 12
; NamedBarCnt: 0
; Occupancy: 16
; WaveLimiterHint : 1
; COMPUTE_PGM_RSRC2:SCRATCH_EN: 0
; COMPUTE_PGM_RSRC2:USER_SGPR: 2
; COMPUTE_PGM_RSRC2:TRAP_HANDLER: 0
; COMPUTE_PGM_RSRC2:TGID_X_EN: 1
; COMPUTE_PGM_RSRC2:TGID_Y_EN: 1
; COMPUTE_PGM_RSRC2:TGID_Z_EN: 1
; COMPUTE_PGM_RSRC2:TIDIG_COMP_CNT: 0
	.section	.text._ZL19concat_f32_non_contILi2EEvPKcS1_Pcllllmmmmllllmmmmllllmmmm,"axG",@progbits,_ZL19concat_f32_non_contILi2EEvPKcS1_Pcllllmmmmllllmmmmllllmmmm,comdat
	.globl	_ZL19concat_f32_non_contILi2EEvPKcS1_Pcllllmmmmllllmmmmllllmmmm ; -- Begin function _ZL19concat_f32_non_contILi2EEvPKcS1_Pcllllmmmmllllmmmmllllmmmm
	.p2align	8
	.type	_ZL19concat_f32_non_contILi2EEvPKcS1_Pcllllmmmmllllmmmmllllmmmm,@function
_ZL19concat_f32_non_contILi2EEvPKcS1_Pcllllmmmmllllmmmmllllmmmm: ; @_ZL19concat_f32_non_contILi2EEvPKcS1_Pcllllmmmmllllmmmmllllmmmm
; %bb.0:
	s_load_b64 s[2:3], s[0:1], 0x98
	v_mov_b32_e32 v1, 0
	s_mov_b32 s4, exec_lo
	s_wait_kmcnt 0x0
	s_delay_alu instid0(VALU_DEP_1)
	v_cmpx_gt_i64_e64 s[2:3], v[0:1]
	s_cbranch_execz .LBB5_3
; %bb.1:
	s_clause 0x4
	s_load_b256 s[36:43], s[0:1], 0xb8
	s_load_b256 s[20:27], s[0:1], 0x78
	s_load_b512 s[4:19], s[0:1], 0x0
	s_load_b64 s[44:45], s[0:1], 0x50
	s_load_b128 s[28:31], s[0:1], 0x40
	s_bfe_u32 s33, ttmp6, 0x40014
	s_lshr_b32 s48, ttmp7, 16
	s_add_co_i32 s33, s33, 1
	s_bfe_u32 s35, ttmp6, 0x40010
	s_mul_i32 s33, s48, s33
	s_bfe_u32 s34, ttmp6, 0x40008
	s_and_b32 s46, ttmp7, 0xffff
	s_add_co_i32 s35, s35, 1
	s_bfe_u32 s47, ttmp6, 0x4000c
	s_add_co_i32 s33, s34, s33
	s_mul_i32 s34, s46, s35
	s_bfe_u32 s35, ttmp6, 0x40004
	s_add_co_i32 s47, s47, 1
	s_add_co_i32 s49, s35, s34
	s_and_b32 s34, ttmp6, 15
	s_mul_i32 s35, ttmp9, s47
	s_getreg_b32 s47, hwreg(HW_REG_IB_STS2, 6, 4)
	s_add_co_i32 s34, s34, s35
	s_cmp_eq_u32 s47, 0
	s_mov_b32 s35, 0
	s_cselect_b32 s34, ttmp9, s34
	s_cselect_b32 s46, s46, s49
	s_mov_b32 s47, s35
	s_cselect_b32 s48, s48, s33
	s_mov_b32 s49, s35
	s_wait_kmcnt 0x0
	v_cmp_gt_i64_e64 s33, s[12:13], s[34:35]
	v_cmp_gt_i64_e64 s50, s[16:17], s[48:49]
	s_mul_u64 s[12:13], s[42:43], s[48:49]
	s_mul_u64 s[16:17], s[40:41], s[46:47]
	;; [unrolled: 1-line block ×3, first 2 shown]
	s_load_b32 s40, s[0:1], 0xe4
	s_wait_xcnt 0x0
	s_add_nc_u64 s[0:1], s[12:13], s[16:17]
	v_cmp_lt_i64_e64 s51, s[46:47], s[14:15]
	s_add_nc_u64 s[0:1], s[0:1], s[38:39]
	v_dual_mov_b32 v4, s19 :: v_dual_mov_b32 v5, s18
	s_add_nc_u64 s[0:1], s[8:9], s[0:1]
	s_mul_u64 s[8:9], s[26:27], s[48:49]
	v_mad_nc_u64_u32 v[2:3], s36, v0, s[0:1]
	s_sub_nc_u64 s[0:1], s[46:47], s[14:15]
	s_add_nc_u64 s[6:7], s[6:7], s[8:9]
	s_mul_u64 s[0:1], s[24:25], s[0:1]
	s_mul_u64 s[8:9], s[44:45], s[48:49]
	s_add_nc_u64 s[0:1], s[6:7], s[0:1]
	s_add_nc_u64 s[4:5], s[4:5], s[8:9]
	s_mul_u64 s[6:7], s[30:31], s[46:47]
	s_and_b32 s12, s33, s50
	s_add_nc_u64 s[4:5], s[4:5], s[6:7]
	s_mul_u64 s[6:7], s[28:29], s[34:35]
	v_mad_u32 v3, s37, v0, v3
	s_add_nc_u64 s[4:5], s[4:5], s[6:7]
	s_mul_u64 s[8:9], s[22:23], s[34:35]
	v_dual_mov_b32 v6, s5 :: v_dual_mov_b32 v7, s4
	s_wait_kmcnt 0x0
	s_and_b32 s34, s40, 0xffff
	s_and_b32 s12, s12, s51
	s_add_nc_u64 s[0:1], s[0:1], s[8:9]
	s_mul_u64 s[4:5], s[36:37], s[34:35]
	s_mov_b32 s6, s35
.LBB5_2:                                ; =>This Inner Loop Header: Depth=1
	v_cmp_gt_i64_e32 vcc_lo, s[10:11], v[0:1]
	s_and_b32 vcc_lo, vcc_lo, s12
	v_cndmask_b32_e32 v11, s20, v5, vcc_lo
	v_cndmask_b32_e32 v9, s1, v6, vcc_lo
	;; [unrolled: 1-line block ×4, first 2 shown]
	s_delay_alu instid0(VALU_DEP_2) | instskip(NEXT) | instid1(VALU_DEP_1)
	v_mad_nc_u64_u32 v[8:9], v0, v11, v[8:9]
	v_mad_u32 v9, v1, v11, v9
	s_delay_alu instid0(VALU_DEP_1) | instskip(SKIP_1) | instid1(VALU_DEP_1)
	v_mad_u32 v9, v0, v10, v9
	v_add_nc_u64_e32 v[0:1], s[34:35], v[0:1]
	v_cmp_le_i64_e32 vcc_lo, s[2:3], v[0:1]
	global_load_b32 v8, v[8:9], off
	s_or_b32 s6, vcc_lo, s6
	s_wait_loadcnt 0x0
	global_store_b32 v[2:3], v8, off
	s_wait_xcnt 0x0
	v_add_nc_u64_e32 v[2:3], s[4:5], v[2:3]
	s_and_not1_b32 exec_lo, exec_lo, s6
	s_cbranch_execnz .LBB5_2
.LBB5_3:
	s_endpgm
	.section	.rodata,"a",@progbits
	.p2align	6, 0x0
	.amdhsa_kernel _ZL19concat_f32_non_contILi2EEvPKcS1_Pcllllmmmmllllmmmmllllmmmm
		.amdhsa_group_segment_fixed_size 0
		.amdhsa_private_segment_fixed_size 0
		.amdhsa_kernarg_size 472
		.amdhsa_user_sgpr_count 2
		.amdhsa_user_sgpr_dispatch_ptr 0
		.amdhsa_user_sgpr_queue_ptr 0
		.amdhsa_user_sgpr_kernarg_segment_ptr 1
		.amdhsa_user_sgpr_dispatch_id 0
		.amdhsa_user_sgpr_kernarg_preload_length 0
		.amdhsa_user_sgpr_kernarg_preload_offset 0
		.amdhsa_user_sgpr_private_segment_size 0
		.amdhsa_wavefront_size32 1
		.amdhsa_uses_dynamic_stack 0
		.amdhsa_enable_private_segment 0
		.amdhsa_system_sgpr_workgroup_id_x 1
		.amdhsa_system_sgpr_workgroup_id_y 1
		.amdhsa_system_sgpr_workgroup_id_z 1
		.amdhsa_system_sgpr_workgroup_info 0
		.amdhsa_system_vgpr_workitem_id 0
		.amdhsa_next_free_vgpr 12
		.amdhsa_next_free_sgpr 52
		.amdhsa_named_barrier_count 0
		.amdhsa_reserve_vcc 1
		.amdhsa_float_round_mode_32 0
		.amdhsa_float_round_mode_16_64 0
		.amdhsa_float_denorm_mode_32 3
		.amdhsa_float_denorm_mode_16_64 3
		.amdhsa_fp16_overflow 0
		.amdhsa_memory_ordered 1
		.amdhsa_forward_progress 1
		.amdhsa_inst_pref_size 4
		.amdhsa_round_robin_scheduling 0
		.amdhsa_exception_fp_ieee_invalid_op 0
		.amdhsa_exception_fp_denorm_src 0
		.amdhsa_exception_fp_ieee_div_zero 0
		.amdhsa_exception_fp_ieee_overflow 0
		.amdhsa_exception_fp_ieee_underflow 0
		.amdhsa_exception_fp_ieee_inexact 0
		.amdhsa_exception_int_div_zero 0
	.end_amdhsa_kernel
	.section	.text._ZL19concat_f32_non_contILi2EEvPKcS1_Pcllllmmmmllllmmmmllllmmmm,"axG",@progbits,_ZL19concat_f32_non_contILi2EEvPKcS1_Pcllllmmmmllllmmmmllllmmmm,comdat
.Lfunc_end5:
	.size	_ZL19concat_f32_non_contILi2EEvPKcS1_Pcllllmmmmllllmmmmllllmmmm, .Lfunc_end5-_ZL19concat_f32_non_contILi2EEvPKcS1_Pcllllmmmmllllmmmmllllmmmm
                                        ; -- End function
	.set _ZL19concat_f32_non_contILi2EEvPKcS1_Pcllllmmmmllllmmmmllllmmmm.num_vgpr, 12
	.set _ZL19concat_f32_non_contILi2EEvPKcS1_Pcllllmmmmllllmmmmllllmmmm.num_agpr, 0
	.set _ZL19concat_f32_non_contILi2EEvPKcS1_Pcllllmmmmllllmmmmllllmmmm.numbered_sgpr, 52
	.set _ZL19concat_f32_non_contILi2EEvPKcS1_Pcllllmmmmllllmmmmllllmmmm.num_named_barrier, 0
	.set _ZL19concat_f32_non_contILi2EEvPKcS1_Pcllllmmmmllllmmmmllllmmmm.private_seg_size, 0
	.set _ZL19concat_f32_non_contILi2EEvPKcS1_Pcllllmmmmllllmmmmllllmmmm.uses_vcc, 1
	.set _ZL19concat_f32_non_contILi2EEvPKcS1_Pcllllmmmmllllmmmmllllmmmm.uses_flat_scratch, 0
	.set _ZL19concat_f32_non_contILi2EEvPKcS1_Pcllllmmmmllllmmmmllllmmmm.has_dyn_sized_stack, 0
	.set _ZL19concat_f32_non_contILi2EEvPKcS1_Pcllllmmmmllllmmmmllllmmmm.has_recursion, 0
	.set _ZL19concat_f32_non_contILi2EEvPKcS1_Pcllllmmmmllllmmmmllllmmmm.has_indirect_call, 0
	.section	.AMDGPU.csdata,"",@progbits
; Kernel info:
; codeLenInByte = 496
; TotalNumSgprs: 54
; NumVgprs: 12
; ScratchSize: 0
; MemoryBound: 0
; FloatMode: 240
; IeeeMode: 1
; LDSByteSize: 0 bytes/workgroup (compile time only)
; SGPRBlocks: 0
; VGPRBlocks: 0
; NumSGPRsForWavesPerEU: 54
; NumVGPRsForWavesPerEU: 12
; NamedBarCnt: 0
; Occupancy: 16
; WaveLimiterHint : 1
; COMPUTE_PGM_RSRC2:SCRATCH_EN: 0
; COMPUTE_PGM_RSRC2:USER_SGPR: 2
; COMPUTE_PGM_RSRC2:TRAP_HANDLER: 0
; COMPUTE_PGM_RSRC2:TGID_X_EN: 1
; COMPUTE_PGM_RSRC2:TGID_Y_EN: 1
; COMPUTE_PGM_RSRC2:TGID_Z_EN: 1
; COMPUTE_PGM_RSRC2:TIDIG_COMP_CNT: 0
	.section	.text._ZL19concat_f32_non_contILi3EEvPKcS1_Pcllllmmmmllllmmmmllllmmmm,"axG",@progbits,_ZL19concat_f32_non_contILi3EEvPKcS1_Pcllllmmmmllllmmmmllllmmmm,comdat
	.globl	_ZL19concat_f32_non_contILi3EEvPKcS1_Pcllllmmmmllllmmmmllllmmmm ; -- Begin function _ZL19concat_f32_non_contILi3EEvPKcS1_Pcllllmmmmllllmmmmllllmmmm
	.p2align	8
	.type	_ZL19concat_f32_non_contILi3EEvPKcS1_Pcllllmmmmllllmmmmllllmmmm,@function
_ZL19concat_f32_non_contILi3EEvPKcS1_Pcllllmmmmllllmmmmllllmmmm: ; @_ZL19concat_f32_non_contILi3EEvPKcS1_Pcllllmmmmllllmmmmllllmmmm
; %bb.0:
	s_load_b64 s[2:3], s[0:1], 0x98
	v_mov_b32_e32 v1, 0
	s_mov_b32 s4, exec_lo
	s_wait_kmcnt 0x0
	s_delay_alu instid0(VALU_DEP_1)
	v_cmpx_gt_i64_e64 s[2:3], v[0:1]
	s_cbranch_execz .LBB6_3
; %bb.1:
	s_clause 0x4
	s_load_b256 s[36:43], s[0:1], 0xb8
	s_load_b256 s[20:27], s[0:1], 0x78
	s_load_b512 s[4:19], s[0:1], 0x0
	s_load_b64 s[44:45], s[0:1], 0x50
	s_load_b128 s[28:31], s[0:1], 0x40
	s_bfe_u32 s33, ttmp6, 0x40014
	s_lshr_b32 s48, ttmp7, 16
	s_add_co_i32 s33, s33, 1
	s_bfe_u32 s35, ttmp6, 0x40010
	s_mul_i32 s33, s48, s33
	s_bfe_u32 s34, ttmp6, 0x40008
	s_and_b32 s46, ttmp7, 0xffff
	s_add_co_i32 s35, s35, 1
	s_bfe_u32 s47, ttmp6, 0x4000c
	s_add_co_i32 s33, s34, s33
	s_mul_i32 s34, s46, s35
	s_bfe_u32 s35, ttmp6, 0x40004
	s_add_co_i32 s47, s47, 1
	s_add_co_i32 s49, s35, s34
	s_and_b32 s34, ttmp6, 15
	s_mul_i32 s35, ttmp9, s47
	s_getreg_b32 s47, hwreg(HW_REG_IB_STS2, 6, 4)
	s_add_co_i32 s34, s34, s35
	s_cmp_eq_u32 s47, 0
	s_mov_b32 s35, 0
	s_cselect_b32 s34, ttmp9, s34
	s_cselect_b32 s46, s46, s49
	s_mov_b32 s47, s35
	s_cselect_b32 s48, s48, s33
	s_mov_b32 s49, s35
	s_wait_kmcnt 0x0
	v_cmp_gt_i64_e64 s33, s[12:13], s[34:35]
	v_cmp_gt_i64_e64 s50, s[14:15], s[46:47]
	s_mul_u64 s[12:13], s[42:43], s[48:49]
	s_mul_u64 s[14:15], s[40:41], s[46:47]
	;; [unrolled: 1-line block ×3, first 2 shown]
	s_load_b32 s40, s[0:1], 0xe4
	s_wait_xcnt 0x0
	s_add_nc_u64 s[0:1], s[12:13], s[14:15]
	s_sub_nc_u64 s[12:13], s[48:49], s[16:17]
	s_add_nc_u64 s[0:1], s[0:1], s[38:39]
	s_mul_u64 s[12:13], s[26:27], s[12:13]
	s_add_nc_u64 s[0:1], s[8:9], s[0:1]
	v_cmp_lt_i64_e64 s51, s[48:49], s[16:17]
	v_mad_nc_u64_u32 v[2:3], s36, v0, s[0:1]
	s_add_nc_u64 s[0:1], s[6:7], s[12:13]
	s_mul_u64 s[6:7], s[24:25], s[46:47]
	s_mul_u64 s[12:13], s[44:45], s[48:49]
	s_add_nc_u64 s[0:1], s[0:1], s[6:7]
	s_add_nc_u64 s[4:5], s[4:5], s[12:13]
	s_mul_u64 s[6:7], s[30:31], s[46:47]
	v_dual_mov_b32 v4, s19 :: v_dual_mov_b32 v5, s18
	s_add_nc_u64 s[4:5], s[4:5], s[6:7]
	s_mul_u64 s[6:7], s[28:29], s[34:35]
	s_delay_alu instid0(VALU_DEP_2)
	v_mad_u32 v3, s37, v0, v3
	s_add_nc_u64 s[4:5], s[4:5], s[6:7]
	s_and_b32 s14, s33, s50
	v_dual_mov_b32 v6, s5 :: v_dual_mov_b32 v7, s4
	s_mul_u64 s[12:13], s[22:23], s[34:35]
	s_wait_kmcnt 0x0
	s_and_b32 s34, s40, 0xffff
	s_and_b32 s8, s14, s51
	s_add_nc_u64 s[0:1], s[0:1], s[12:13]
	s_mul_u64 s[4:5], s[36:37], s[34:35]
	s_mov_b32 s6, s35
.LBB6_2:                                ; =>This Inner Loop Header: Depth=1
	v_cmp_gt_i64_e32 vcc_lo, s[10:11], v[0:1]
	s_and_b32 vcc_lo, vcc_lo, s8
	v_cndmask_b32_e32 v11, s20, v5, vcc_lo
	v_cndmask_b32_e32 v9, s1, v6, vcc_lo
	;; [unrolled: 1-line block ×4, first 2 shown]
	s_delay_alu instid0(VALU_DEP_2) | instskip(NEXT) | instid1(VALU_DEP_1)
	v_mad_nc_u64_u32 v[8:9], v0, v11, v[8:9]
	v_mad_u32 v9, v1, v11, v9
	s_delay_alu instid0(VALU_DEP_1) | instskip(SKIP_1) | instid1(VALU_DEP_1)
	v_mad_u32 v9, v0, v10, v9
	v_add_nc_u64_e32 v[0:1], s[34:35], v[0:1]
	v_cmp_le_i64_e32 vcc_lo, s[2:3], v[0:1]
	global_load_b32 v8, v[8:9], off
	s_or_b32 s6, vcc_lo, s6
	s_wait_loadcnt 0x0
	global_store_b32 v[2:3], v8, off
	s_wait_xcnt 0x0
	v_add_nc_u64_e32 v[2:3], s[4:5], v[2:3]
	s_and_not1_b32 exec_lo, exec_lo, s6
	s_cbranch_execnz .LBB6_2
.LBB6_3:
	s_endpgm
	.section	.rodata,"a",@progbits
	.p2align	6, 0x0
	.amdhsa_kernel _ZL19concat_f32_non_contILi3EEvPKcS1_Pcllllmmmmllllmmmmllllmmmm
		.amdhsa_group_segment_fixed_size 0
		.amdhsa_private_segment_fixed_size 0
		.amdhsa_kernarg_size 472
		.amdhsa_user_sgpr_count 2
		.amdhsa_user_sgpr_dispatch_ptr 0
		.amdhsa_user_sgpr_queue_ptr 0
		.amdhsa_user_sgpr_kernarg_segment_ptr 1
		.amdhsa_user_sgpr_dispatch_id 0
		.amdhsa_user_sgpr_kernarg_preload_length 0
		.amdhsa_user_sgpr_kernarg_preload_offset 0
		.amdhsa_user_sgpr_private_segment_size 0
		.amdhsa_wavefront_size32 1
		.amdhsa_uses_dynamic_stack 0
		.amdhsa_enable_private_segment 0
		.amdhsa_system_sgpr_workgroup_id_x 1
		.amdhsa_system_sgpr_workgroup_id_y 1
		.amdhsa_system_sgpr_workgroup_id_z 1
		.amdhsa_system_sgpr_workgroup_info 0
		.amdhsa_system_vgpr_workitem_id 0
		.amdhsa_next_free_vgpr 12
		.amdhsa_next_free_sgpr 52
		.amdhsa_named_barrier_count 0
		.amdhsa_reserve_vcc 1
		.amdhsa_float_round_mode_32 0
		.amdhsa_float_round_mode_16_64 0
		.amdhsa_float_denorm_mode_32 3
		.amdhsa_float_denorm_mode_16_64 3
		.amdhsa_fp16_overflow 0
		.amdhsa_memory_ordered 1
		.amdhsa_forward_progress 1
		.amdhsa_inst_pref_size 4
		.amdhsa_round_robin_scheduling 0
		.amdhsa_exception_fp_ieee_invalid_op 0
		.amdhsa_exception_fp_denorm_src 0
		.amdhsa_exception_fp_ieee_div_zero 0
		.amdhsa_exception_fp_ieee_overflow 0
		.amdhsa_exception_fp_ieee_underflow 0
		.amdhsa_exception_fp_ieee_inexact 0
		.amdhsa_exception_int_div_zero 0
	.end_amdhsa_kernel
	.section	.text._ZL19concat_f32_non_contILi3EEvPKcS1_Pcllllmmmmllllmmmmllllmmmm,"axG",@progbits,_ZL19concat_f32_non_contILi3EEvPKcS1_Pcllllmmmmllllmmmmllllmmmm,comdat
.Lfunc_end6:
	.size	_ZL19concat_f32_non_contILi3EEvPKcS1_Pcllllmmmmllllmmmmllllmmmm, .Lfunc_end6-_ZL19concat_f32_non_contILi3EEvPKcS1_Pcllllmmmmllllmmmmllllmmmm
                                        ; -- End function
	.set _ZL19concat_f32_non_contILi3EEvPKcS1_Pcllllmmmmllllmmmmllllmmmm.num_vgpr, 12
	.set _ZL19concat_f32_non_contILi3EEvPKcS1_Pcllllmmmmllllmmmmllllmmmm.num_agpr, 0
	.set _ZL19concat_f32_non_contILi3EEvPKcS1_Pcllllmmmmllllmmmmllllmmmm.numbered_sgpr, 52
	.set _ZL19concat_f32_non_contILi3EEvPKcS1_Pcllllmmmmllllmmmmllllmmmm.num_named_barrier, 0
	.set _ZL19concat_f32_non_contILi3EEvPKcS1_Pcllllmmmmllllmmmmllllmmmm.private_seg_size, 0
	.set _ZL19concat_f32_non_contILi3EEvPKcS1_Pcllllmmmmllllmmmmllllmmmm.uses_vcc, 1
	.set _ZL19concat_f32_non_contILi3EEvPKcS1_Pcllllmmmmllllmmmmllllmmmm.uses_flat_scratch, 0
	.set _ZL19concat_f32_non_contILi3EEvPKcS1_Pcllllmmmmllllmmmmllllmmmm.has_dyn_sized_stack, 0
	.set _ZL19concat_f32_non_contILi3EEvPKcS1_Pcllllmmmmllllmmmmllllmmmm.has_recursion, 0
	.set _ZL19concat_f32_non_contILi3EEvPKcS1_Pcllllmmmmllllmmmmllllmmmm.has_indirect_call, 0
	.section	.AMDGPU.csdata,"",@progbits
; Kernel info:
; codeLenInByte = 500
; TotalNumSgprs: 54
; NumVgprs: 12
; ScratchSize: 0
; MemoryBound: 0
; FloatMode: 240
; IeeeMode: 1
; LDSByteSize: 0 bytes/workgroup (compile time only)
; SGPRBlocks: 0
; VGPRBlocks: 0
; NumSGPRsForWavesPerEU: 54
; NumVGPRsForWavesPerEU: 12
; NamedBarCnt: 0
; Occupancy: 16
; WaveLimiterHint : 1
; COMPUTE_PGM_RSRC2:SCRATCH_EN: 0
; COMPUTE_PGM_RSRC2:USER_SGPR: 2
; COMPUTE_PGM_RSRC2:TRAP_HANDLER: 0
; COMPUTE_PGM_RSRC2:TGID_X_EN: 1
; COMPUTE_PGM_RSRC2:TGID_Y_EN: 1
; COMPUTE_PGM_RSRC2:TGID_Z_EN: 1
; COMPUTE_PGM_RSRC2:TIDIG_COMP_CNT: 0
	.section	.AMDGPU.gpr_maximums,"",@progbits
	.set amdgpu.max_num_vgpr, 0
	.set amdgpu.max_num_agpr, 0
	.set amdgpu.max_num_sgpr, 0
	.section	.AMDGPU.csdata,"",@progbits
	.type	__hip_cuid_e4e9b629121e2476,@object ; @__hip_cuid_e4e9b629121e2476
	.section	.bss,"aw",@nobits
	.globl	__hip_cuid_e4e9b629121e2476
__hip_cuid_e4e9b629121e2476:
	.byte	0                               ; 0x0
	.size	__hip_cuid_e4e9b629121e2476, 1

	.ident	"AMD clang version 22.0.0git (https://github.com/RadeonOpenCompute/llvm-project roc-7.2.4 26084 f58b06dce1f9c15707c5f808fd002e18c2accf7e)"
	.section	".note.GNU-stack","",@progbits
	.addrsig
	.addrsig_sym __hip_cuid_e4e9b629121e2476
	.amdgpu_metadata
---
amdhsa.kernels:
  - .args:
      - .address_space:  global
        .offset:         0
        .size:           8
        .value_kind:     global_buffer
      - .address_space:  global
        .offset:         8
        .size:           8
        .value_kind:     global_buffer
      - .address_space:  global
        .offset:         16
        .size:           8
        .value_kind:     global_buffer
      - .offset:         24
        .size:           8
        .value_kind:     by_value
      - .offset:         32
        .size:           8
        .value_kind:     by_value
      - .offset:         40
        .size:           8
        .value_kind:     by_value
      - .offset:         48
        .size:           8
        .value_kind:     by_value
      - .offset:         56
        .size:           8
        .value_kind:     by_value
      - .offset:         64
        .size:           8
        .value_kind:     by_value
      - .offset:         72
        .size:           4
        .value_kind:     hidden_block_count_x
      - .offset:         76
        .size:           4
        .value_kind:     hidden_block_count_y
      - .offset:         80
        .size:           4
        .value_kind:     hidden_block_count_z
      - .offset:         84
        .size:           2
        .value_kind:     hidden_group_size_x
      - .offset:         86
        .size:           2
        .value_kind:     hidden_group_size_y
      - .offset:         88
        .size:           2
        .value_kind:     hidden_group_size_z
      - .offset:         90
        .size:           2
        .value_kind:     hidden_remainder_x
      - .offset:         92
        .size:           2
        .value_kind:     hidden_remainder_y
      - .offset:         94
        .size:           2
        .value_kind:     hidden_remainder_z
      - .offset:         112
        .size:           8
        .value_kind:     hidden_global_offset_x
      - .offset:         120
        .size:           8
        .value_kind:     hidden_global_offset_y
      - .offset:         128
        .size:           8
        .value_kind:     hidden_global_offset_z
      - .offset:         136
        .size:           2
        .value_kind:     hidden_grid_dims
    .group_segment_fixed_size: 0
    .kernarg_segment_align: 8
    .kernarg_segment_size: 328
    .language:       OpenCL C
    .language_version:
      - 2
      - 0
    .max_flat_workgroup_size: 256
    .name:           _ZL15concat_f32_contILi0EEvPKfS1_Pfllllll
    .private_segment_fixed_size: 0
    .sgpr_count:     42
    .sgpr_spill_count: 0
    .symbol:         _ZL15concat_f32_contILi0EEvPKfS1_Pfllllll.kd
    .uniform_work_group_size: 1
    .uses_dynamic_stack: false
    .vgpr_count:     24
    .vgpr_spill_count: 0
    .wavefront_size: 32
  - .args:
      - .address_space:  global
        .offset:         0
        .size:           8
        .value_kind:     global_buffer
      - .address_space:  global
        .offset:         8
        .size:           8
        .value_kind:     global_buffer
      - .address_space:  global
        .offset:         16
        .size:           8
        .value_kind:     global_buffer
      - .offset:         24
        .size:           8
        .value_kind:     by_value
      - .offset:         32
        .size:           8
        .value_kind:     by_value
      - .offset:         40
        .size:           8
        .value_kind:     by_value
      - .offset:         48
        .size:           8
        .value_kind:     by_value
      - .offset:         56
        .size:           8
        .value_kind:     by_value
      - .offset:         64
        .size:           8
        .value_kind:     by_value
      - .offset:         72
        .size:           4
        .value_kind:     hidden_block_count_x
      - .offset:         76
        .size:           4
        .value_kind:     hidden_block_count_y
      - .offset:         80
        .size:           4
        .value_kind:     hidden_block_count_z
      - .offset:         84
        .size:           2
        .value_kind:     hidden_group_size_x
      - .offset:         86
        .size:           2
        .value_kind:     hidden_group_size_y
      - .offset:         88
        .size:           2
        .value_kind:     hidden_group_size_z
      - .offset:         90
        .size:           2
        .value_kind:     hidden_remainder_x
      - .offset:         92
        .size:           2
        .value_kind:     hidden_remainder_y
      - .offset:         94
        .size:           2
        .value_kind:     hidden_remainder_z
      - .offset:         112
        .size:           8
        .value_kind:     hidden_global_offset_x
      - .offset:         120
        .size:           8
        .value_kind:     hidden_global_offset_y
      - .offset:         128
        .size:           8
        .value_kind:     hidden_global_offset_z
      - .offset:         136
        .size:           2
        .value_kind:     hidden_grid_dims
    .group_segment_fixed_size: 0
    .kernarg_segment_align: 8
    .kernarg_segment_size: 328
    .language:       OpenCL C
    .language_version:
      - 2
      - 0
    .max_flat_workgroup_size: 256
    .name:           _ZL15concat_f32_contILi1EEvPKfS1_Pfllllll
    .private_segment_fixed_size: 0
    .sgpr_count:     42
    .sgpr_spill_count: 0
    .symbol:         _ZL15concat_f32_contILi1EEvPKfS1_Pfllllll.kd
    .uniform_work_group_size: 1
    .uses_dynamic_stack: false
    .vgpr_count:     22
    .vgpr_spill_count: 0
    .wavefront_size: 32
  - .args:
      - .address_space:  global
        .offset:         0
        .size:           8
        .value_kind:     global_buffer
      - .address_space:  global
        .offset:         8
        .size:           8
        .value_kind:     global_buffer
      - .address_space:  global
        .offset:         16
        .size:           8
        .value_kind:     global_buffer
      - .offset:         24
        .size:           8
        .value_kind:     by_value
      - .offset:         32
        .size:           8
        .value_kind:     by_value
      - .offset:         40
        .size:           8
        .value_kind:     by_value
      - .offset:         48
        .size:           8
        .value_kind:     by_value
      - .offset:         56
        .size:           8
        .value_kind:     by_value
      - .offset:         64
        .size:           8
        .value_kind:     by_value
      - .offset:         72
        .size:           4
        .value_kind:     hidden_block_count_x
      - .offset:         76
        .size:           4
        .value_kind:     hidden_block_count_y
      - .offset:         80
        .size:           4
        .value_kind:     hidden_block_count_z
      - .offset:         84
        .size:           2
        .value_kind:     hidden_group_size_x
      - .offset:         86
        .size:           2
        .value_kind:     hidden_group_size_y
      - .offset:         88
        .size:           2
        .value_kind:     hidden_group_size_z
      - .offset:         90
        .size:           2
        .value_kind:     hidden_remainder_x
      - .offset:         92
        .size:           2
        .value_kind:     hidden_remainder_y
      - .offset:         94
        .size:           2
        .value_kind:     hidden_remainder_z
      - .offset:         112
        .size:           8
        .value_kind:     hidden_global_offset_x
      - .offset:         120
        .size:           8
        .value_kind:     hidden_global_offset_y
      - .offset:         128
        .size:           8
        .value_kind:     hidden_global_offset_z
      - .offset:         136
        .size:           2
        .value_kind:     hidden_grid_dims
    .group_segment_fixed_size: 0
    .kernarg_segment_align: 8
    .kernarg_segment_size: 328
    .language:       OpenCL C
    .language_version:
      - 2
      - 0
    .max_flat_workgroup_size: 256
    .name:           _ZL15concat_f32_contILi2EEvPKfS1_Pfllllll
    .private_segment_fixed_size: 0
    .sgpr_count:     22
    .sgpr_spill_count: 0
    .symbol:         _ZL15concat_f32_contILi2EEvPKfS1_Pfllllll.kd
    .uniform_work_group_size: 1
    .uses_dynamic_stack: false
    .vgpr_count:     12
    .vgpr_spill_count: 0
    .wavefront_size: 32
  - .args:
      - .address_space:  global
        .offset:         0
        .size:           8
        .value_kind:     global_buffer
      - .address_space:  global
        .offset:         8
        .size:           8
        .value_kind:     global_buffer
      - .address_space:  global
        .offset:         16
        .size:           8
        .value_kind:     global_buffer
      - .offset:         24
        .size:           8
        .value_kind:     by_value
      - .offset:         32
        .size:           8
        .value_kind:     by_value
      - .offset:         40
        .size:           8
        .value_kind:     by_value
      - .offset:         48
        .size:           8
        .value_kind:     by_value
      - .offset:         56
        .size:           8
        .value_kind:     by_value
      - .offset:         64
        .size:           8
        .value_kind:     by_value
      - .offset:         72
        .size:           8
        .value_kind:     by_value
      - .offset:         80
        .size:           8
        .value_kind:     by_value
      - .offset:         88
        .size:           8
        .value_kind:     by_value
      - .offset:         96
        .size:           8
        .value_kind:     by_value
      - .offset:         104
        .size:           8
        .value_kind:     by_value
      - .offset:         112
        .size:           8
        .value_kind:     by_value
      - .offset:         120
        .size:           8
        .value_kind:     by_value
      - .offset:         128
        .size:           8
        .value_kind:     by_value
      - .offset:         136
        .size:           8
        .value_kind:     by_value
      - .offset:         144
        .size:           8
        .value_kind:     by_value
      - .offset:         152
        .size:           8
        .value_kind:     by_value
      - .offset:         160
        .size:           8
        .value_kind:     by_value
      - .offset:         168
        .size:           8
        .value_kind:     by_value
      - .offset:         176
        .size:           8
        .value_kind:     by_value
      - .offset:         184
        .size:           8
        .value_kind:     by_value
      - .offset:         192
        .size:           8
        .value_kind:     by_value
      - .offset:         200
        .size:           8
        .value_kind:     by_value
      - .offset:         208
        .size:           8
        .value_kind:     by_value
      - .offset:         216
        .size:           4
        .value_kind:     hidden_block_count_x
      - .offset:         220
        .size:           4
        .value_kind:     hidden_block_count_y
      - .offset:         224
        .size:           4
        .value_kind:     hidden_block_count_z
      - .offset:         228
        .size:           2
        .value_kind:     hidden_group_size_x
      - .offset:         230
        .size:           2
        .value_kind:     hidden_group_size_y
      - .offset:         232
        .size:           2
        .value_kind:     hidden_group_size_z
      - .offset:         234
        .size:           2
        .value_kind:     hidden_remainder_x
      - .offset:         236
        .size:           2
        .value_kind:     hidden_remainder_y
      - .offset:         238
        .size:           2
        .value_kind:     hidden_remainder_z
      - .offset:         256
        .size:           8
        .value_kind:     hidden_global_offset_x
      - .offset:         264
        .size:           8
        .value_kind:     hidden_global_offset_y
      - .offset:         272
        .size:           8
        .value_kind:     hidden_global_offset_z
      - .offset:         280
        .size:           2
        .value_kind:     hidden_grid_dims
    .group_segment_fixed_size: 0
    .kernarg_segment_align: 8
    .kernarg_segment_size: 472
    .language:       OpenCL C
    .language_version:
      - 2
      - 0
    .max_flat_workgroup_size: 256
    .name:           _ZL19concat_f32_non_contILi0EEvPKcS1_Pcllllmmmmllllmmmmllllmmmm
    .private_segment_fixed_size: 0
    .sgpr_count:     53
    .sgpr_spill_count: 0
    .symbol:         _ZL19concat_f32_non_contILi0EEvPKcS1_Pcllllmmmmllllmmmmllllmmmm.kd
    .uniform_work_group_size: 1
    .uses_dynamic_stack: false
    .vgpr_count:     10
    .vgpr_spill_count: 0
    .wavefront_size: 32
  - .args:
      - .address_space:  global
        .offset:         0
        .size:           8
        .value_kind:     global_buffer
      - .address_space:  global
        .offset:         8
        .size:           8
        .value_kind:     global_buffer
      - .address_space:  global
        .offset:         16
        .size:           8
        .value_kind:     global_buffer
      - .offset:         24
        .size:           8
        .value_kind:     by_value
      - .offset:         32
        .size:           8
        .value_kind:     by_value
      - .offset:         40
        .size:           8
        .value_kind:     by_value
      - .offset:         48
        .size:           8
        .value_kind:     by_value
      - .offset:         56
        .size:           8
        .value_kind:     by_value
      - .offset:         64
        .size:           8
        .value_kind:     by_value
      - .offset:         72
        .size:           8
        .value_kind:     by_value
      - .offset:         80
        .size:           8
        .value_kind:     by_value
      - .offset:         88
        .size:           8
        .value_kind:     by_value
      - .offset:         96
        .size:           8
        .value_kind:     by_value
      - .offset:         104
        .size:           8
        .value_kind:     by_value
      - .offset:         112
        .size:           8
        .value_kind:     by_value
      - .offset:         120
        .size:           8
        .value_kind:     by_value
      - .offset:         128
        .size:           8
        .value_kind:     by_value
      - .offset:         136
        .size:           8
        .value_kind:     by_value
      - .offset:         144
        .size:           8
        .value_kind:     by_value
      - .offset:         152
        .size:           8
        .value_kind:     by_value
      - .offset:         160
        .size:           8
        .value_kind:     by_value
      - .offset:         168
        .size:           8
        .value_kind:     by_value
      - .offset:         176
        .size:           8
        .value_kind:     by_value
      - .offset:         184
        .size:           8
        .value_kind:     by_value
      - .offset:         192
        .size:           8
        .value_kind:     by_value
      - .offset:         200
        .size:           8
        .value_kind:     by_value
      - .offset:         208
        .size:           8
        .value_kind:     by_value
      - .offset:         216
        .size:           4
        .value_kind:     hidden_block_count_x
      - .offset:         220
        .size:           4
        .value_kind:     hidden_block_count_y
      - .offset:         224
        .size:           4
        .value_kind:     hidden_block_count_z
      - .offset:         228
        .size:           2
        .value_kind:     hidden_group_size_x
      - .offset:         230
        .size:           2
        .value_kind:     hidden_group_size_y
      - .offset:         232
        .size:           2
        .value_kind:     hidden_group_size_z
      - .offset:         234
        .size:           2
        .value_kind:     hidden_remainder_x
      - .offset:         236
        .size:           2
        .value_kind:     hidden_remainder_y
      - .offset:         238
        .size:           2
        .value_kind:     hidden_remainder_z
      - .offset:         256
        .size:           8
        .value_kind:     hidden_global_offset_x
      - .offset:         264
        .size:           8
        .value_kind:     hidden_global_offset_y
      - .offset:         272
        .size:           8
        .value_kind:     hidden_global_offset_z
      - .offset:         280
        .size:           2
        .value_kind:     hidden_grid_dims
    .group_segment_fixed_size: 0
    .kernarg_segment_align: 8
    .kernarg_segment_size: 472
    .language:       OpenCL C
    .language_version:
      - 2
      - 0
    .max_flat_workgroup_size: 256
    .name:           _ZL19concat_f32_non_contILi1EEvPKcS1_Pcllllmmmmllllmmmmllllmmmm
    .private_segment_fixed_size: 0
    .sgpr_count:     54
    .sgpr_spill_count: 0
    .symbol:         _ZL19concat_f32_non_contILi1EEvPKcS1_Pcllllmmmmllllmmmmllllmmmm.kd
    .uniform_work_group_size: 1
    .uses_dynamic_stack: false
    .vgpr_count:     12
    .vgpr_spill_count: 0
    .wavefront_size: 32
  - .args:
      - .address_space:  global
        .offset:         0
        .size:           8
        .value_kind:     global_buffer
      - .address_space:  global
        .offset:         8
        .size:           8
        .value_kind:     global_buffer
      - .address_space:  global
        .offset:         16
        .size:           8
        .value_kind:     global_buffer
      - .offset:         24
        .size:           8
        .value_kind:     by_value
      - .offset:         32
        .size:           8
        .value_kind:     by_value
      - .offset:         40
        .size:           8
        .value_kind:     by_value
      - .offset:         48
        .size:           8
        .value_kind:     by_value
      - .offset:         56
        .size:           8
        .value_kind:     by_value
      - .offset:         64
        .size:           8
        .value_kind:     by_value
      - .offset:         72
        .size:           8
        .value_kind:     by_value
      - .offset:         80
        .size:           8
        .value_kind:     by_value
      - .offset:         88
        .size:           8
        .value_kind:     by_value
      - .offset:         96
        .size:           8
        .value_kind:     by_value
      - .offset:         104
        .size:           8
        .value_kind:     by_value
      - .offset:         112
        .size:           8
        .value_kind:     by_value
      - .offset:         120
        .size:           8
        .value_kind:     by_value
      - .offset:         128
        .size:           8
        .value_kind:     by_value
      - .offset:         136
        .size:           8
        .value_kind:     by_value
      - .offset:         144
        .size:           8
        .value_kind:     by_value
      - .offset:         152
        .size:           8
        .value_kind:     by_value
      - .offset:         160
        .size:           8
        .value_kind:     by_value
      - .offset:         168
        .size:           8
        .value_kind:     by_value
      - .offset:         176
        .size:           8
        .value_kind:     by_value
      - .offset:         184
        .size:           8
        .value_kind:     by_value
      - .offset:         192
        .size:           8
        .value_kind:     by_value
      - .offset:         200
        .size:           8
        .value_kind:     by_value
      - .offset:         208
        .size:           8
        .value_kind:     by_value
      - .offset:         216
        .size:           4
        .value_kind:     hidden_block_count_x
      - .offset:         220
        .size:           4
        .value_kind:     hidden_block_count_y
      - .offset:         224
        .size:           4
        .value_kind:     hidden_block_count_z
      - .offset:         228
        .size:           2
        .value_kind:     hidden_group_size_x
      - .offset:         230
        .size:           2
        .value_kind:     hidden_group_size_y
      - .offset:         232
        .size:           2
        .value_kind:     hidden_group_size_z
      - .offset:         234
        .size:           2
        .value_kind:     hidden_remainder_x
      - .offset:         236
        .size:           2
        .value_kind:     hidden_remainder_y
      - .offset:         238
        .size:           2
        .value_kind:     hidden_remainder_z
      - .offset:         256
        .size:           8
        .value_kind:     hidden_global_offset_x
      - .offset:         264
        .size:           8
        .value_kind:     hidden_global_offset_y
      - .offset:         272
        .size:           8
        .value_kind:     hidden_global_offset_z
      - .offset:         280
        .size:           2
        .value_kind:     hidden_grid_dims
    .group_segment_fixed_size: 0
    .kernarg_segment_align: 8
    .kernarg_segment_size: 472
    .language:       OpenCL C
    .language_version:
      - 2
      - 0
    .max_flat_workgroup_size: 256
    .name:           _ZL19concat_f32_non_contILi2EEvPKcS1_Pcllllmmmmllllmmmmllllmmmm
    .private_segment_fixed_size: 0
    .sgpr_count:     54
    .sgpr_spill_count: 0
    .symbol:         _ZL19concat_f32_non_contILi2EEvPKcS1_Pcllllmmmmllllmmmmllllmmmm.kd
    .uniform_work_group_size: 1
    .uses_dynamic_stack: false
    .vgpr_count:     12
    .vgpr_spill_count: 0
    .wavefront_size: 32
  - .args:
      - .address_space:  global
        .offset:         0
        .size:           8
        .value_kind:     global_buffer
      - .address_space:  global
        .offset:         8
        .size:           8
        .value_kind:     global_buffer
      - .address_space:  global
        .offset:         16
        .size:           8
        .value_kind:     global_buffer
      - .offset:         24
        .size:           8
        .value_kind:     by_value
      - .offset:         32
        .size:           8
        .value_kind:     by_value
      - .offset:         40
        .size:           8
        .value_kind:     by_value
      - .offset:         48
        .size:           8
        .value_kind:     by_value
      - .offset:         56
        .size:           8
        .value_kind:     by_value
      - .offset:         64
        .size:           8
        .value_kind:     by_value
      - .offset:         72
        .size:           8
        .value_kind:     by_value
      - .offset:         80
        .size:           8
        .value_kind:     by_value
      - .offset:         88
        .size:           8
        .value_kind:     by_value
      - .offset:         96
        .size:           8
        .value_kind:     by_value
      - .offset:         104
        .size:           8
        .value_kind:     by_value
      - .offset:         112
        .size:           8
        .value_kind:     by_value
      - .offset:         120
        .size:           8
        .value_kind:     by_value
      - .offset:         128
        .size:           8
        .value_kind:     by_value
      - .offset:         136
        .size:           8
        .value_kind:     by_value
      - .offset:         144
        .size:           8
        .value_kind:     by_value
      - .offset:         152
        .size:           8
        .value_kind:     by_value
      - .offset:         160
        .size:           8
        .value_kind:     by_value
      - .offset:         168
        .size:           8
        .value_kind:     by_value
      - .offset:         176
        .size:           8
        .value_kind:     by_value
      - .offset:         184
        .size:           8
        .value_kind:     by_value
      - .offset:         192
        .size:           8
        .value_kind:     by_value
      - .offset:         200
        .size:           8
        .value_kind:     by_value
      - .offset:         208
        .size:           8
        .value_kind:     by_value
      - .offset:         216
        .size:           4
        .value_kind:     hidden_block_count_x
      - .offset:         220
        .size:           4
        .value_kind:     hidden_block_count_y
      - .offset:         224
        .size:           4
        .value_kind:     hidden_block_count_z
      - .offset:         228
        .size:           2
        .value_kind:     hidden_group_size_x
      - .offset:         230
        .size:           2
        .value_kind:     hidden_group_size_y
      - .offset:         232
        .size:           2
        .value_kind:     hidden_group_size_z
      - .offset:         234
        .size:           2
        .value_kind:     hidden_remainder_x
      - .offset:         236
        .size:           2
        .value_kind:     hidden_remainder_y
      - .offset:         238
        .size:           2
        .value_kind:     hidden_remainder_z
      - .offset:         256
        .size:           8
        .value_kind:     hidden_global_offset_x
      - .offset:         264
        .size:           8
        .value_kind:     hidden_global_offset_y
      - .offset:         272
        .size:           8
        .value_kind:     hidden_global_offset_z
      - .offset:         280
        .size:           2
        .value_kind:     hidden_grid_dims
    .group_segment_fixed_size: 0
    .kernarg_segment_align: 8
    .kernarg_segment_size: 472
    .language:       OpenCL C
    .language_version:
      - 2
      - 0
    .max_flat_workgroup_size: 256
    .name:           _ZL19concat_f32_non_contILi3EEvPKcS1_Pcllllmmmmllllmmmmllllmmmm
    .private_segment_fixed_size: 0
    .sgpr_count:     54
    .sgpr_spill_count: 0
    .symbol:         _ZL19concat_f32_non_contILi3EEvPKcS1_Pcllllmmmmllllmmmmllllmmmm.kd
    .uniform_work_group_size: 1
    .uses_dynamic_stack: false
    .vgpr_count:     12
    .vgpr_spill_count: 0
    .wavefront_size: 32
amdhsa.target:   amdgcn-amd-amdhsa--gfx1250
amdhsa.version:
  - 1
  - 2
...

	.end_amdgpu_metadata
